;; amdgpu-corpus repo=ROCm/aiter kind=harvested arch=n/a opt=n/a

/root/src/amdgpu-assembly/repos/ROCm__aiter/hsa/gfx942/flatmm_uk_gfx9_f16f8_128x256x128_1x4x1_16x16x32.co:	file format elf64-amdgpu

Disassembly of section .text:

0000000000001c00 <flatmm_uk_gfx9_f16f8_128x256x128_1x4x1_16x16x32>:
	s_load_dwordx4 s[4:7], s[0:1], 0x58                        // 000000001C00: C00A0100 00000058
	s_load_dwordx4 s[8:11], s[0:1], 0x0                        // 000000001C08: C00A0200 00000000
	s_load_dwordx4 s[12:15], s[0:1], 0x18                      // 000000001C10: C00A0300 00000018
	s_waitcnt lgkmcnt(0)                                       // 000000001C18: BF8CC07F
	s_mul_i32 s33, s6, s4                                      // 000000001C1C: 92210406
	s_lshl_b32 s7, s3, 7                                       // 000000001C20: 8E078703
	v_lshlrev_b32_e32 v1, 2, v0                                // 000000001C24: 24020082
	v_and_b32_e32 v2, 0x7c, v1                                 // 000000001C28: 260402FF 0000007C
	s_ashr_i32 s18, s5, 31                                     // 000000001C30: 90129F05
	s_lshr_b32 s16, s18, 28                                    // 000000001C34: 8F109C12
	s_add_i32 s16, s5, s16                                     // 000000001C38: 81101005
	s_ashr_i32 s16, s16, 4                                     // 000000001C3C: 90108410
	s_ashr_i32 s17, s4, 31                                     // 000000001C40: 90119F04
	s_lshr_b32 s19, s17, 27                                    // 000000001C44: 8F139B11
	s_add_i32 s19, s4, s19                                     // 000000001C48: 81131304
	s_ashr_i32 s19, s19, 5                                     // 000000001C4C: 90138513
	s_lshl_b32 s20, s2, 4                                      // 000000001C50: 8E148402
	s_lshl_b32 s21, s19, 9                                     // 000000001C54: 8E158913
	s_mul_i32 s20, s20, s21                                    // 000000001C58: 92141514
	s_ashr_i32 s22, s20, 31                                    // 000000001C5C: 90169F14
	s_add_u32 s34, s10, s20                                    // 000000001C60: 8022140A
	s_addc_u32 s35, s11, s22                                   // 000000001C64: 8223160B
	s_add_i32 s16, s16, -1                                     // 000000001C68: 8110C110
	s_mul_i32 s10, s21, s16                                    // 000000001C6C: 920A1015
	s_add_i32 s36, s21, s10                                    // 000000001C70: 81240A15
	v_lshrrev_b32_e32 v1, 6, v0                                // 000000001C74: 20020086
	s_nop 0                                                    // 000000001C78: BF800000
	v_readfirstlane_b32 s10, v1                                // 000000001C7C: 7E140501
	s_mov_b32 s11, 0                                           // 000000001C80: BE8B0080
	v_mbcnt_lo_u32_b32 v3, -1, 0                               // 000000001C84: D28C0003 000100C1
	v_mbcnt_hi_u32_b32 v3, -1, v3                              // 000000001C8C: D28D0003 000206C1
	s_mul_i32 s16, s10, s21                                    // 000000001C94: 9210150A
	v_lshl_add_u32 v4, v3, 4, s16                              // 000000001C98: D1FD0004 00410903
	s_lshl_b32 s16, s19, 11                                    // 000000001CA0: 8E108B13
	v_add_u32_e32 v5, s16, v4                                  // 000000001CA4: 680A0810
	v_add_u32_e32 v6, s16, v5                                  // 000000001CA8: 680C0A10
	v_add_u32_e32 v7, s16, v6                                  // 000000001CAC: 680E0C10
	s_mul_i32 s37, s10, 0x110                                  // 000000001CB0: 9225FF0A 00000110
	s_lshr_b32 s10, s17, 25                                    // 000000001CB8: 8F0A9911
	s_add_i32 s10, s4, s10                                     // 000000001CBC: 810A0A04
	s_ashr_i32 s38, s10, 7                                     // 000000001CC0: 9026870A
	v_lshlrev_b32_e32 v8, 4, v0                                // 000000001CC4: 24100084
	v_and_b32_e32 v9, 48, v0                                   // 000000001CC8: 261200B0
	v_lshrrev_b32_e32 v3, 3, v0                                // 000000001CCC: 20060083
	v_and_b32_e32 v3, 4, v3                                    // 000000001CD0: 26060684
	v_or3_b32 v3, v3, v1, s7                                   // 000000001CD4: D2020003 001E0303
	v_mad_u64_u32 v[2:3], s[16:17], s4, v3, v[2:3]             // 000000001CDC: D1E81002 040A0604
	s_lshl_b32 s4, s4, 3                                       // 000000001CE4: 8E048304
	v_add_u32_e32 v3, s4, v2                                   // 000000001CE8: 68060404
	v_add_u32_e32 v10, s4, v3                                  // 000000001CEC: 68140604
	v_add_u32_e32 v11, s4, v10                                 // 000000001CF0: 68161404
	v_add_u32_e32 v12, s4, v11                                 // 000000001CF4: 68181604
	v_add_u32_e32 v13, s4, v12                                 // 000000001CF8: 681A1804
	v_add_u32_e32 v14, s4, v13                                 // 000000001CFC: 681C1A04
	v_add_u32_e32 v15, s4, v14                                 // 000000001D00: 681E1C04
	v_add_u32_e32 v16, s4, v15                                 // 000000001D04: 68201E04
	v_add_u32_e32 v17, s4, v16                                 // 000000001D08: 68222004
	v_add_u32_e32 v18, s4, v17                                 // 000000001D0C: 68242204
	v_add_u32_e32 v19, s4, v18                                 // 000000001D10: 68262404
	v_add_u32_e32 v20, s4, v19                                 // 000000001D14: 68282604
	v_add_u32_e32 v21, s4, v20                                 // 000000001D18: 682A2804
	v_add_u32_e32 v22, s4, v21                                 // 000000001D1C: 682C2A04
	v_add_u32_e32 v23, s4, v22                                 // 000000001D20: 682E2C04
	s_movk_i32 s4, 0x120                                       // 000000001D24: B0040120
	v_mul_u32_u24_e32 v1, 0x120, v1                            // 000000001D28: 100202FF 00000120
	s_nop 0                                                    // 000000001D30: BF800000
	v_readfirstlane_b32 s39, v1                                // 000000001D34: 7E4E0501
	v_and_b32_e32 v1, 3, v0                                    // 000000001D38: 26020083
	v_bfe_i32 v24, v0, 2, 1                                    // 000000001D3C: D1C90018 02050500
	s_movk_i32 s40, 0x470                                      // 000000001D44: B0280470
	v_and_b32_e32 v24, 0x470, v24                              // 000000001D48: 263030FF 00000470
	s_movk_i32 s41, 0x80                                       // 000000001D50: B0290080
	v_and_b32_e32 v25, 0x80, v8                                // 000000001D54: 263210FF 00000080
	v_mad_u32_u24 v9, v1, s4, v9                               // 000000001D5C: D1C30009 04240901
	v_add3_u32 v9, v9, v25, v24                                // 000000001D64: D1FF0009 04623309
	v_bfe_u32 v24, v0, 3, 1                                    // 000000001D6C: D1C80018 02050700
	v_lshrrev_b32_e32 v25, 1, v0                               // 000000001D74: 20320081
	v_and_or_b32 v24, v25, 2, v24                              // 000000001D78: D2010018 04610519
	v_lshl_or_b32 v1, v24, 2, v1                               // 000000001D80: D2000001 04050518
	s_lshl_b32 s3, s3, 9                                       // 000000001D88: 8E038903
	v_lshl_or_b32 v24, v1, 2, s3                               // 000000001D8C: D2000018 000D0501
	s_ashr_i32 s3, s33, 31                                     // 000000001D94: 90039F21
	s_lshr_b32 s3, s3, 25                                      // 000000001D98: 8F039903
	s_add_i32 s3, s33, s3                                      // 000000001D9C: 81030321
	s_ashr_i32 s3, s3, 7                                       // 000000001DA0: 90038703
	s_lshl_b32 s3, s3, 2                                       // 000000001DA4: 8E038203
	s_lshl_b32 s4, s6, 2                                       // 000000001DA8: 8E048206
	s_lshl_b32 s10, s2, 1                                      // 000000001DAC: 8E0A8102
	s_lshl_b64 s[16:17], s[10:11], 2                           // 000000001DB0: 8E90820A
	s_add_u32 s10, s14, s16                                    // 000000001DB4: 800A100E
	s_addc_u32 s42, s15, s17                                   // 000000001DB8: 822A110F
	s_lshr_b32 s14, s18, 25                                    // 000000001DBC: 8F0E9912
	s_add_i32 s14, s5, s14                                     // 000000001DC0: 810E0E05
	s_ashr_i32 s14, s14, 7                                     // 000000001DC4: 900E870E
	s_lshl_b32 s43, s14, 2                                     // 000000001DC8: 8E2B820E
	s_mov_b64 s[14:15], src_shared_base                        // 000000001DCC: BE8E01EB
	s_mov_b32 s14, s11                                         // 000000001DD0: BE8E000B
	s_mov_b32 s11, 0x20000                                     // 000000001DD4: BE8B00FF 00020000
	s_movk_i32 s44, 0x800                                      // 000000001DDC: B02C0800
	s_movk_i32 s45, 0x440                                      // 000000001DE0: B02D0440
	s_movk_i32 s46, 0x46f0                                     // 000000001DE4: B02E46F0
	s_mov_b32 s16, s8                                          // 000000001DE8: BE900008
	s_mov_b32 s17, s9                                          // 000000001DEC: BE910009
	s_mov_b32 s18, s33                                         // 000000001DF0: BE920021
	s_mov_b32 s19, s11                                         // 000000001DF4: BE93000B
	s_mov_b32 s20, s34                                         // 000000001DF8: BE940022
	s_mov_b32 s21, s35                                         // 000000001DFC: BE950023
	s_mov_b32 s22, s36                                         // 000000001E00: BE960024
	s_mov_b32 s23, s11                                         // 000000001E04: BE97000B
	s_mov_b32 s24, s12                                         // 000000001E08: BE98000C
	s_mov_b32 s25, s13                                         // 000000001E0C: BE99000D
	s_mov_b32 s26, s3                                          // 000000001E10: BE9A0003
	s_mov_b32 s27, s11                                         // 000000001E14: BE9B000B
	s_mov_b32 s28, s10                                         // 000000001E18: BE9C000A
	s_mov_b32 s29, s42                                         // 000000001E1C: BE9D002A
	s_add_u32 m0, s39, 0                                       // 000000001E20: 807C8027
	buffer_load_dword v2, s[16:19], 0 offen lds                // 000000001E24: E0511000 80040002
	s_add_u32 m0, s40, m0                                      // 000000001E2C: 807C7C28
	buffer_load_dword v3, s[16:19], 0 offen lds                // 000000001E30: E0511000 80040003
	s_add_u32 m0, s40, m0                                      // 000000001E38: 807C7C28
	buffer_load_dword v10, s[16:19], 0 offen lds               // 000000001E3C: E0511000 8004000A
	s_add_u32 m0, s40, m0                                      // 000000001E44: 807C7C28
	buffer_load_dword v11, s[16:19], 0 offen lds               // 000000001E48: E0511000 8004000B
	s_add_u32 m0, s40, m0                                      // 000000001E50: 807C7C28
	buffer_load_dword v12, s[16:19], 0 offen lds               // 000000001E54: E0511000 8004000C
	s_add_u32 m0, s40, m0                                      // 000000001E5C: 807C7C28
	buffer_load_dword v13, s[16:19], 0 offen lds               // 000000001E60: E0511000 8004000D
	s_add_u32 m0, s40, m0                                      // 000000001E68: 807C7C28
	buffer_load_dword v14, s[16:19], 0 offen lds               // 000000001E6C: E0511000 8004000E
	s_add_u32 m0, s40, m0                                      // 000000001E74: 807C7C28
	buffer_load_dword v15, s[16:19], 0 offen lds               // 000000001E78: E0511000 8004000F
	s_add_u32 m0, s40, m0                                      // 000000001E80: 807C7C28
	buffer_load_dword v16, s[16:19], 0 offen lds               // 000000001E84: E0511000 80040010
	s_add_u32 m0, s40, m0                                      // 000000001E8C: 807C7C28
	buffer_load_dword v17, s[16:19], 0 offen lds               // 000000001E90: E0511000 80040011
	s_add_u32 m0, s40, m0                                      // 000000001E98: 807C7C28
	buffer_load_dword v18, s[16:19], 0 offen lds               // 000000001E9C: E0511000 80040012
	s_add_u32 m0, s40, m0                                      // 000000001EA4: 807C7C28
	buffer_load_dword v19, s[16:19], 0 offen lds               // 000000001EA8: E0511000 80040013
	s_add_u32 m0, s40, m0                                      // 000000001EB0: 807C7C28
	buffer_load_dword v20, s[16:19], 0 offen lds               // 000000001EB4: E0511000 80040014
	s_add_u32 m0, s40, m0                                      // 000000001EBC: 807C7C28
	buffer_load_dword v21, s[16:19], 0 offen lds               // 000000001EC0: E0511000 80040015
	s_add_u32 m0, s40, m0                                      // 000000001EC8: 807C7C28
	buffer_load_dword v22, s[16:19], 0 offen lds               // 000000001ECC: E0511000 80040016
	s_add_u32 m0, s40, m0                                      // 000000001ED4: 807C7C28
	buffer_load_dword v23, s[16:19], 0 offen lds               // 000000001ED8: E0511000 80040017
	buffer_load_dwordx4 a[0:3], v4, s[20:23], 0 offen          // 000000001EE0: E05C1000 80850004
	buffer_load_dwordx4 a[4:7], v4, s[20:23], 0 offen offset:1024// 000000001EE8: E05C1400 80850404
	buffer_load_dwordx4 a[8:11], v5, s[20:23], 0 offen         // 000000001EF0: E05C1000 80850805
	buffer_load_dwordx4 a[12:15], v5, s[20:23], 0 offen offset:1024// 000000001EF8: E05C1400 80850C05
	buffer_load_dwordx4 a[32:35], v6, s[20:23], 0 offen        // 000000001F00: E05C1000 80852006
	buffer_load_dwordx4 a[36:39], v6, s[20:23], 0 offen offset:1024// 000000001F08: E05C1400 80852406
	buffer_load_dwordx4 a[40:43], v7, s[20:23], 0 offen        // 000000001F10: E05C1000 80852807
	buffer_load_dwordx4 a[44:47], v7, s[20:23], 0 offen offset:1024// 000000001F18: E05C1400 80852C07
	buffer_load_dword v224, v24, s[24:27], 0 offen             // 000000001F20: E0501000 8006E018
	buffer_load_dword v225, v24, s[24:27], 0 offen offset:64   // 000000001F28: E0501040 8006E118
	buffer_load_dword v226, v24, s[24:27], 0 offen offset:128  // 000000001F30: E0501080 8006E218
	buffer_load_dword v227, v24, s[24:27], 0 offen offset:192  // 000000001F38: E05010C0 8006E318
	buffer_load_dword v228, v24, s[24:27], 0 offen offset:256  // 000000001F40: E0501100 8006E418
	buffer_load_dword v229, v24, s[24:27], 0 offen offset:320  // 000000001F48: E0501140 8006E518
	buffer_load_dword v230, v24, s[24:27], 0 offen offset:384  // 000000001F50: E0501180 8006E618
	buffer_load_dword v231, v24, s[24:27], 0 offen offset:448  // 000000001F58: E05011C0 8006E718
	s_load_dwordx2 s[30:31], s[28:29], 0x0                     // 000000001F60: C006078E 00000000
	s_cmp_gt_i32 s38, 1                                        // 000000001F68: BF028126
	s_cselect_b32 s86, s41, 0                                  // 000000001F6C: 85568029
	s_add_u32 s16, s86, s16                                    // 000000001F70: 80101056
	s_addc_u32 s17, 0, s17                                     // 000000001F74: 82111180
	s_cmp_gt_i32 s38, 1                                        // 000000001F78: BF028126
	s_cselect_b32 s86, s44, 0                                  // 000000001F7C: 8556802C
	s_add_u32 s20, s86, s20                                    // 000000001F80: 80141456
	s_addc_u32 s21, 0, s21                                     // 000000001F84: 82151580
	s_cmp_gt_i32 s38, 1                                        // 000000001F88: BF028126
	s_cselect_b32 s86, s4, 0                                   // 000000001F8C: 85568004
	s_add_u32 s24, s86, s24                                    // 000000001F90: 80181856
	s_addc_u32 s25, 0, s25                                     // 000000001F94: 82191980
	s_cmp_gt_i32 s38, 1                                        // 000000001F98: BF028126
	s_cselect_b32 s86, s43, 0                                  // 000000001F9C: 8556802B
	s_add_u32 s28, s86, s28                                    // 000000001FA0: 801C1C56
	s_addc_u32 s29, 0, s29                                     // 000000001FA4: 821D1D80
	s_add_u32 m0, s39, 0x46f0                                  // 000000001FA8: 807CFF27 000046F0
	buffer_load_dword v2, s[16:19], 0 offen lds                // 000000001FB0: E0511000 80040002
	s_add_u32 m0, s40, m0                                      // 000000001FB8: 807C7C28
	buffer_load_dword v3, s[16:19], 0 offen lds                // 000000001FBC: E0511000 80040003
	s_add_u32 m0, s40, m0                                      // 000000001FC4: 807C7C28
	buffer_load_dword v10, s[16:19], 0 offen lds               // 000000001FC8: E0511000 8004000A
	s_add_u32 m0, s40, m0                                      // 000000001FD0: 807C7C28
	buffer_load_dword v11, s[16:19], 0 offen lds               // 000000001FD4: E0511000 8004000B
	s_add_u32 m0, s40, m0                                      // 000000001FDC: 807C7C28
	buffer_load_dword v12, s[16:19], 0 offen lds               // 000000001FE0: E0511000 8004000C
	s_add_u32 m0, s40, m0                                      // 000000001FE8: 807C7C28
	buffer_load_dword v13, s[16:19], 0 offen lds               // 000000001FEC: E0511000 8004000D
	s_add_u32 m0, s40, m0                                      // 000000001FF4: 807C7C28
	buffer_load_dword v14, s[16:19], 0 offen lds               // 000000001FF8: E0511000 8004000E
	s_add_u32 m0, s40, m0                                      // 000000002000: 807C7C28
	buffer_load_dword v15, s[16:19], 0 offen lds               // 000000002004: E0511000 8004000F
	s_add_u32 m0, s40, m0                                      // 00000000200C: 807C7C28
	buffer_load_dword v16, s[16:19], 0 offen lds               // 000000002010: E0511000 80040010
	s_add_u32 m0, s40, m0                                      // 000000002018: 807C7C28
	buffer_load_dword v17, s[16:19], 0 offen lds               // 00000000201C: E0511000 80040011
	s_add_u32 m0, s40, m0                                      // 000000002024: 807C7C28
	buffer_load_dword v18, s[16:19], 0 offen lds               // 000000002028: E0511000 80040012
	s_add_u32 m0, s40, m0                                      // 000000002030: 807C7C28
	buffer_load_dword v19, s[16:19], 0 offen lds               // 000000002034: E0511000 80040013
	s_add_u32 m0, s40, m0                                      // 00000000203C: 807C7C28
	buffer_load_dword v20, s[16:19], 0 offen lds               // 000000002040: E0511000 80040014
	s_add_u32 m0, s40, m0                                      // 000000002048: 807C7C28
	buffer_load_dword v21, s[16:19], 0 offen lds               // 00000000204C: E0511000 80040015
	s_add_u32 m0, s40, m0                                      // 000000002054: 807C7C28
	buffer_load_dword v22, s[16:19], 0 offen lds               // 000000002058: E0511000 80040016
	s_add_u32 m0, s40, m0                                      // 000000002060: 807C7C28
	buffer_load_dword v23, s[16:19], 0 offen lds               // 000000002064: E0511000 80040017
	s_waitcnt vmcnt(16)                                        // 00000000206C: BF8C4F70
	s_barrier                                                  // 000000002070: BF8A0000
	ds_read_b128 a[64:67], v9                                  // 000000002074: DBFE0000 40000009
	ds_read_b128 a[68:71], v9 offset:64                        // 00000000207C: DBFE0040 44000009
	ds_read_b128 a[72:75], v9 offset:2272                      // 000000002084: DBFE08E0 48000009
	ds_read_b128 a[76:79], v9 offset:2336                      // 00000000208C: DBFE0920 4C000009
	ds_read_b128 a[80:83], v9 offset:4544                      // 000000002094: DBFE11C0 50000009
	ds_read_b128 a[84:87], v9 offset:4608                      // 00000000209C: DBFE1200 54000009
	ds_read_b128 a[88:91], v9 offset:6816                      // 0000000020A4: DBFE1AA0 58000009
	ds_read_b128 a[92:95], v9 offset:6880                      // 0000000020AC: DBFE1AE0 5C000009
	ds_read_b128 a[96:99], v9 offset:9088                      // 0000000020B4: DBFE2380 60000009
	ds_read_b128 a[100:103], v9 offset:9152                    // 0000000020BC: DBFE23C0 64000009
	ds_read_b128 a[104:107], v9 offset:11360                   // 0000000020C4: DBFE2C60 68000009
	ds_read_b128 a[108:111], v9 offset:11424                   // 0000000020CC: DBFE2CA0 6C000009
	ds_read_b128 a[112:115], v9 offset:13632                   // 0000000020D4: DBFE3540 70000009
	ds_read_b128 a[116:119], v9 offset:13696                   // 0000000020DC: DBFE3580 74000009
	ds_read_b128 a[120:123], v9 offset:15904                   // 0000000020E4: DBFE3E20 78000009
	ds_read_b128 a[124:127], v9 offset:15968                   // 0000000020EC: DBFE3E60 7C000009
	v_mov_b32_e32 v64, 0                                       // 0000000020F4: 7E800280
	v_mov_b32_e32 v65, 0                                       // 0000000020F8: 7E820280
	v_mov_b32_e32 v66, 0                                       // 0000000020FC: 7E840280
	v_mov_b32_e32 v67, 0                                       // 000000002100: 7E860280
	v_mov_b32_e32 v68, 0                                       // 000000002104: 7E880280
	v_mov_b32_e32 v69, 0                                       // 000000002108: 7E8A0280
	v_mov_b32_e32 v70, 0                                       // 00000000210C: 7E8C0280
	v_mov_b32_e32 v71, 0                                       // 000000002110: 7E8E0280
	v_mov_b32_e32 v72, 0                                       // 000000002114: 7E900280
	v_mov_b32_e32 v73, 0                                       // 000000002118: 7E920280
	v_mov_b32_e32 v74, 0                                       // 00000000211C: 7E940280
	v_mov_b32_e32 v75, 0                                       // 000000002120: 7E960280
	v_mov_b32_e32 v76, 0                                       // 000000002124: 7E980280
	v_mov_b32_e32 v77, 0                                       // 000000002128: 7E9A0280
	v_mov_b32_e32 v78, 0                                       // 00000000212C: 7E9C0280
	v_mov_b32_e32 v79, 0                                       // 000000002130: 7E9E0280
	v_mov_b32_e32 v80, 0                                       // 000000002134: 7EA00280
	v_mov_b32_e32 v81, 0                                       // 000000002138: 7EA20280
	v_mov_b32_e32 v82, 0                                       // 00000000213C: 7EA40280
	v_mov_b32_e32 v83, 0                                       // 000000002140: 7EA60280
	v_mov_b32_e32 v84, 0                                       // 000000002144: 7EA80280
	v_mov_b32_e32 v85, 0                                       // 000000002148: 7EAA0280
	v_mov_b32_e32 v86, 0                                       // 00000000214C: 7EAC0280
	v_mov_b32_e32 v87, 0                                       // 000000002150: 7EAE0280
	v_mov_b32_e32 v88, 0                                       // 000000002154: 7EB00280
	v_mov_b32_e32 v89, 0                                       // 000000002158: 7EB20280
	v_mov_b32_e32 v90, 0                                       // 00000000215C: 7EB40280
	v_mov_b32_e32 v91, 0                                       // 000000002160: 7EB60280
	v_mov_b32_e32 v92, 0                                       // 000000002164: 7EB80280
	v_mov_b32_e32 v93, 0                                       // 000000002168: 7EBA0280
	v_mov_b32_e32 v94, 0                                       // 00000000216C: 7EBC0280
	v_mov_b32_e32 v95, 0                                       // 000000002170: 7EBE0280
	v_mov_b32_e32 v96, 0                                       // 000000002174: 7EC00280
	v_mov_b32_e32 v97, 0                                       // 000000002178: 7EC20280
	v_mov_b32_e32 v98, 0                                       // 00000000217C: 7EC40280
	v_mov_b32_e32 v99, 0                                       // 000000002180: 7EC60280
	v_mov_b32_e32 v100, 0                                      // 000000002184: 7EC80280
	v_mov_b32_e32 v101, 0                                      // 000000002188: 7ECA0280
	v_mov_b32_e32 v102, 0                                      // 00000000218C: 7ECC0280
	v_mov_b32_e32 v103, 0                                      // 000000002190: 7ECE0280
	v_mov_b32_e32 v104, 0                                      // 000000002194: 7ED00280
	v_mov_b32_e32 v105, 0                                      // 000000002198: 7ED20280
	v_mov_b32_e32 v106, 0                                      // 00000000219C: 7ED40280
	v_mov_b32_e32 v107, 0                                      // 0000000021A0: 7ED60280
	v_mov_b32_e32 v108, 0                                      // 0000000021A4: 7ED80280
	v_mov_b32_e32 v109, 0                                      // 0000000021A8: 7EDA0280
	v_mov_b32_e32 v110, 0                                      // 0000000021AC: 7EDC0280
	v_mov_b32_e32 v111, 0                                      // 0000000021B0: 7EDE0280
	v_mov_b32_e32 v112, 0                                      // 0000000021B4: 7EE00280
	v_mov_b32_e32 v113, 0                                      // 0000000021B8: 7EE20280
	v_mov_b32_e32 v114, 0                                      // 0000000021BC: 7EE40280
	v_mov_b32_e32 v115, 0                                      // 0000000021C0: 7EE60280
	v_mov_b32_e32 v116, 0                                      // 0000000021C4: 7EE80280
	v_mov_b32_e32 v117, 0                                      // 0000000021C8: 7EEA0280
	v_mov_b32_e32 v118, 0                                      // 0000000021CC: 7EEC0280
	v_mov_b32_e32 v119, 0                                      // 0000000021D0: 7EEE0280
	v_mov_b32_e32 v120, 0                                      // 0000000021D4: 7EF00280
	v_mov_b32_e32 v121, 0                                      // 0000000021D8: 7EF20280
	v_mov_b32_e32 v122, 0                                      // 0000000021DC: 7EF40280
	v_mov_b32_e32 v123, 0                                      // 0000000021E0: 7EF60280
	v_mov_b32_e32 v124, 0                                      // 0000000021E4: 7EF80280
	v_mov_b32_e32 v125, 0                                      // 0000000021E8: 7EFA0280
	v_mov_b32_e32 v126, 0                                      // 0000000021EC: 7EFC0280
	v_mov_b32_e32 v127, 0                                      // 0000000021F0: 7EFE0280
	v_mov_b32_e32 v128, 0                                      // 0000000021F4: 7F000280
	v_mov_b32_e32 v129, 0                                      // 0000000021F8: 7F020280
	v_mov_b32_e32 v130, 0                                      // 0000000021FC: 7F040280
	v_mov_b32_e32 v131, 0                                      // 000000002200: 7F060280
	v_mov_b32_e32 v132, 0                                      // 000000002204: 7F080280
	v_mov_b32_e32 v133, 0                                      // 000000002208: 7F0A0280
	v_mov_b32_e32 v134, 0                                      // 00000000220C: 7F0C0280
	v_mov_b32_e32 v135, 0                                      // 000000002210: 7F0E0280
	v_mov_b32_e32 v136, 0                                      // 000000002214: 7F100280
	v_mov_b32_e32 v137, 0                                      // 000000002218: 7F120280
	v_mov_b32_e32 v138, 0                                      // 00000000221C: 7F140280
	v_mov_b32_e32 v139, 0                                      // 000000002220: 7F160280
	v_mov_b32_e32 v140, 0                                      // 000000002224: 7F180280
	v_mov_b32_e32 v141, 0                                      // 000000002228: 7F1A0280
	v_mov_b32_e32 v142, 0                                      // 00000000222C: 7F1C0280
	v_mov_b32_e32 v143, 0                                      // 000000002230: 7F1E0280
	v_mov_b32_e32 v144, 0                                      // 000000002234: 7F200280
	v_mov_b32_e32 v145, 0                                      // 000000002238: 7F220280
	v_mov_b32_e32 v146, 0                                      // 00000000223C: 7F240280
	v_mov_b32_e32 v147, 0                                      // 000000002240: 7F260280
	v_mov_b32_e32 v148, 0                                      // 000000002244: 7F280280
	v_mov_b32_e32 v149, 0                                      // 000000002248: 7F2A0280
	v_mov_b32_e32 v150, 0                                      // 00000000224C: 7F2C0280
	v_mov_b32_e32 v151, 0                                      // 000000002250: 7F2E0280
	v_mov_b32_e32 v152, 0                                      // 000000002254: 7F300280
	v_mov_b32_e32 v153, 0                                      // 000000002258: 7F320280
	v_mov_b32_e32 v154, 0                                      // 00000000225C: 7F340280
	v_mov_b32_e32 v155, 0                                      // 000000002260: 7F360280
	v_mov_b32_e32 v156, 0                                      // 000000002264: 7F380280
	v_mov_b32_e32 v157, 0                                      // 000000002268: 7F3A0280
	v_mov_b32_e32 v158, 0                                      // 00000000226C: 7F3C0280
	v_mov_b32_e32 v159, 0                                      // 000000002270: 7F3E0280
	v_mov_b32_e32 v160, 0                                      // 000000002274: 7F400280
	v_mov_b32_e32 v161, 0                                      // 000000002278: 7F420280
	v_mov_b32_e32 v162, 0                                      // 00000000227C: 7F440280
	v_mov_b32_e32 v163, 0                                      // 000000002280: 7F460280
	v_mov_b32_e32 v164, 0                                      // 000000002284: 7F480280
	v_mov_b32_e32 v165, 0                                      // 000000002288: 7F4A0280
	v_mov_b32_e32 v166, 0                                      // 00000000228C: 7F4C0280
	v_mov_b32_e32 v167, 0                                      // 000000002290: 7F4E0280
	v_mov_b32_e32 v168, 0                                      // 000000002294: 7F500280
	v_mov_b32_e32 v169, 0                                      // 000000002298: 7F520280
	v_mov_b32_e32 v170, 0                                      // 00000000229C: 7F540280
	v_mov_b32_e32 v171, 0                                      // 0000000022A0: 7F560280
	v_mov_b32_e32 v172, 0                                      // 0000000022A4: 7F580280
	v_mov_b32_e32 v173, 0                                      // 0000000022A8: 7F5A0280
	v_mov_b32_e32 v174, 0                                      // 0000000022AC: 7F5C0280
	v_mov_b32_e32 v175, 0                                      // 0000000022B0: 7F5E0280
	v_mov_b32_e32 v176, 0                                      // 0000000022B4: 7F600280
	v_mov_b32_e32 v177, 0                                      // 0000000022B8: 7F620280
	v_mov_b32_e32 v178, 0                                      // 0000000022BC: 7F640280
	v_mov_b32_e32 v179, 0                                      // 0000000022C0: 7F660280
	v_mov_b32_e32 v180, 0                                      // 0000000022C4: 7F680280
	v_mov_b32_e32 v181, 0                                      // 0000000022C8: 7F6A0280
	v_mov_b32_e32 v182, 0                                      // 0000000022CC: 7F6C0280
	v_mov_b32_e32 v183, 0                                      // 0000000022D0: 7F6E0280
	v_mov_b32_e32 v184, 0                                      // 0000000022D4: 7F700280
	v_mov_b32_e32 v185, 0                                      // 0000000022D8: 7F720280
	v_mov_b32_e32 v186, 0                                      // 0000000022DC: 7F740280
	v_mov_b32_e32 v187, 0                                      // 0000000022E0: 7F760280
	v_mov_b32_e32 v188, 0                                      // 0000000022E4: 7F780280
	v_mov_b32_e32 v189, 0                                      // 0000000022E8: 7F7A0280
	v_mov_b32_e32 v190, 0                                      // 0000000022EC: 7F7C0280
	v_mov_b32_e32 v191, 0                                      // 0000000022F0: 7F7E0280
	s_cmp_gt_i32 s38, 2                                        // 0000000022F4: BF028226
	s_cselect_b32 s86, s41, 0                                  // 0000000022F8: 85568029
	s_add_u32 s16, s86, s16                                    // 0000000022FC: 80101056
	s_addc_u32 s17, 0, s17                                     // 000000002300: 82111180

0000000000002304 <L_start0>:
	s_waitcnt lgkmcnt(0)                                       // 000000002304: BF8CC07F
	s_waitcnt vmcnt(16)                                        // 000000002308: BF8C4F70
	s_add_u32 m0, s39, 0                                       // 00000000230C: 807C8027
	s_load_dwordx2 s[84:85], s[28:29], 0x0                     // 000000002310: C006150E 00000000
	v_mov_b32_e32 v50, s31                                     // 000000002318: 7E64021F
	v_mul_f32_e32 v240, v224, v50                              // 00000000231C: 0BE065E0
	v_mul_f32_e32 v241, v225, v50                              // 000000002320: 0BE265E1
	v_mul_f32_e32 v242, v226, v50                              // 000000002324: 0BE465E2
	v_mul_f32_e32 v243, v227, v50                              // 000000002328: 0BE665E3
	v_mul_f32_e32 v244, v228, v50                              // 00000000232C: 0BE865E4
	v_mul_f32_e32 v245, v229, v50                              // 000000002330: 0BEA65E5
	v_mul_f32_e32 v246, v230, v50                              // 000000002334: 0BEC65E6
	v_mul_f32_e32 v247, v231, v50                              // 000000002338: 0BEE65E7
	v_mov_b32_e32 v50, s30                                     // 00000000233C: 7E64021E
	v_mul_f32_e32 v224, v224, v50                              // 000000002340: 0BC065E0
	v_mul_f32_e32 v225, v225, v50                              // 000000002344: 0BC265E1
	v_mul_f32_e32 v226, v226, v50                              // 000000002348: 0BC465E2
	v_mul_f32_e32 v227, v227, v50                              // 00000000234C: 0BC665E3
	v_mul_f32_e32 v228, v228, v50                              // 000000002350: 0BC865E4
	v_mul_f32_e32 v229, v229, v50                              // 000000002354: 0BCA65E5
	v_mul_f32_e32 v230, v230, v50                              // 000000002358: 0BCC65E6
	v_mul_f32_e32 v231, v231, v50                              // 00000000235C: 0BCE65E7
	v_mfma_f32_16x16x32_fp8_fp8 v[56:59], a[0:1], a[64:65], 0  // 000000002360: D3F30038 1A028100
	buffer_load_dwordx4 a[16:19], v4, s[20:23], 0 offen        // 000000002368: E05C1000 80851004
	v_mfma_f32_16x16x32_fp8_fp8 v[56:59], a[2:3], a[66:67], v[56:59]// 000000002370: D3F30038 1CE28502
	v_mfma_f32_16x16x32_fp8_fp8 v[56:59], a[4:5], a[68:69], v[56:59]// 000000002378: D3F30038 1CE28904
	v_mfma_f32_16x16x32_fp8_fp8 v[56:59], a[6:7], a[70:71], v[56:59]// 000000002380: D3F30038 1CE28D06
	v_mfma_f32_16x16x32_fp8_fp8 v[60:63], a[8:9], a[64:65], 0  // 000000002388: D3F3003C 1A028108
	buffer_load_dwordx4 a[20:23], v4, s[20:23], 0 offen offset:1024// 000000002390: E05C1400 80851404
	v_fmac_f32_e32 v64, v56, v224                              // 000000002398: 7681C138
	v_mfma_f32_16x16x32_fp8_fp8 v[60:63], a[10:11], a[66:67], v[60:63]// 00000000239C: D3F3003C 1CF2850A
	v_fmac_f32_e32 v65, v57, v224                              // 0000000023A4: 7683C139
	v_mfma_f32_16x16x32_fp8_fp8 v[60:63], a[12:13], a[68:69], v[60:63]// 0000000023A8: D3F3003C 1CF2890C
	v_fmac_f32_e32 v66, v58, v224                              // 0000000023B0: 7685C13A
	v_mfma_f32_16x16x32_fp8_fp8 v[60:63], a[14:15], a[70:71], v[60:63]// 0000000023B4: D3F3003C 1CF28D0E
	v_fmac_f32_e32 v67, v59, v224                              // 0000000023BC: 7687C13B
	v_mfma_f32_16x16x32_fp8_fp8 v[56:59], a[0:1], a[72:73], 0  // 0000000023C0: D3F30038 1A029100
	buffer_load_dwordx4 a[24:27], v5, s[20:23], 0 offen        // 0000000023C8: E05C1000 80851805
	v_fmac_f32_e32 v68, v60, v224                              // 0000000023D0: 7689C13C
	v_mfma_f32_16x16x32_fp8_fp8 v[56:59], a[2:3], a[74:75], v[56:59]// 0000000023D4: D3F30038 1CE29502
	v_fmac_f32_e32 v69, v61, v224                              // 0000000023DC: 768BC13D
	v_mfma_f32_16x16x32_fp8_fp8 v[56:59], a[4:5], a[76:77], v[56:59]// 0000000023E0: D3F30038 1CE29904
	v_fmac_f32_e32 v70, v62, v224                              // 0000000023E8: 768DC13E
	v_mfma_f32_16x16x32_fp8_fp8 v[56:59], a[6:7], a[78:79], v[56:59]// 0000000023EC: D3F30038 1CE29D06
	v_fmac_f32_e32 v71, v63, v224                              // 0000000023F4: 768FC13F
	v_mfma_f32_16x16x32_fp8_fp8 v[60:63], a[8:9], a[72:73], 0  // 0000000023F8: D3F3003C 1A029108
	buffer_load_dwordx4 a[28:31], v5, s[20:23], 0 offen offset:1024// 000000002400: E05C1400 80851C05
	v_fmac_f32_e32 v72, v56, v225                              // 000000002408: 7691C338
	v_mfma_f32_16x16x32_fp8_fp8 v[60:63], a[10:11], a[74:75], v[60:63]// 00000000240C: D3F3003C 1CF2950A
	v_fmac_f32_e32 v73, v57, v225                              // 000000002414: 7693C339
	v_mfma_f32_16x16x32_fp8_fp8 v[60:63], a[12:13], a[76:77], v[60:63]// 000000002418: D3F3003C 1CF2990C
	v_fmac_f32_e32 v74, v58, v225                              // 000000002420: 7695C33A
	v_mfma_f32_16x16x32_fp8_fp8 v[60:63], a[14:15], a[78:79], v[60:63]// 000000002424: D3F3003C 1CF29D0E
	v_fmac_f32_e32 v75, v59, v225                              // 00000000242C: 7697C33B
	v_mfma_f32_16x16x32_fp8_fp8 v[56:59], a[0:1], a[80:81], 0  // 000000002430: D3F30038 1A02A100
	buffer_load_dwordx4 a[48:51], v6, s[20:23], 0 offen        // 000000002438: E05C1000 80853006
	v_fmac_f32_e32 v76, v60, v225                              // 000000002440: 7699C33C
	v_mfma_f32_16x16x32_fp8_fp8 v[56:59], a[2:3], a[82:83], v[56:59]// 000000002444: D3F30038 1CE2A502
	v_fmac_f32_e32 v77, v61, v225                              // 00000000244C: 769BC33D
	v_mfma_f32_16x16x32_fp8_fp8 v[56:59], a[4:5], a[84:85], v[56:59]// 000000002450: D3F30038 1CE2A904
	v_fmac_f32_e32 v78, v62, v225                              // 000000002458: 769DC33E
	v_mfma_f32_16x16x32_fp8_fp8 v[56:59], a[6:7], a[86:87], v[56:59]// 00000000245C: D3F30038 1CE2AD06
	v_fmac_f32_e32 v79, v63, v225                              // 000000002464: 769FC33F
	v_mfma_f32_16x16x32_fp8_fp8 v[60:63], a[8:9], a[80:81], 0  // 000000002468: D3F3003C 1A02A108
	buffer_load_dwordx4 a[52:55], v6, s[20:23], 0 offen offset:1024// 000000002470: E05C1400 80853406
	v_fmac_f32_e32 v80, v56, v226                              // 000000002478: 76A1C538
	v_mfma_f32_16x16x32_fp8_fp8 v[60:63], a[10:11], a[82:83], v[60:63]// 00000000247C: D3F3003C 1CF2A50A
	v_fmac_f32_e32 v81, v57, v226                              // 000000002484: 76A3C539
	v_mfma_f32_16x16x32_fp8_fp8 v[60:63], a[12:13], a[84:85], v[60:63]// 000000002488: D3F3003C 1CF2A90C
	v_fmac_f32_e32 v82, v58, v226                              // 000000002490: 76A5C53A
	v_mfma_f32_16x16x32_fp8_fp8 v[60:63], a[14:15], a[86:87], v[60:63]// 000000002494: D3F3003C 1CF2AD0E
	v_fmac_f32_e32 v83, v59, v226                              // 00000000249C: 76A7C53B
	v_mfma_f32_16x16x32_fp8_fp8 v[56:59], a[0:1], a[88:89], 0  // 0000000024A0: D3F30038 1A02B100
	buffer_load_dwordx4 a[56:59], v7, s[20:23], 0 offen        // 0000000024A8: E05C1000 80853807
	v_fmac_f32_e32 v84, v60, v226                              // 0000000024B0: 76A9C53C
	v_mfma_f32_16x16x32_fp8_fp8 v[56:59], a[2:3], a[90:91], v[56:59]// 0000000024B4: D3F30038 1CE2B502
	v_fmac_f32_e32 v85, v61, v226                              // 0000000024BC: 76ABC53D
	v_mfma_f32_16x16x32_fp8_fp8 v[56:59], a[4:5], a[92:93], v[56:59]// 0000000024C0: D3F30038 1CE2B904
	v_fmac_f32_e32 v86, v62, v226                              // 0000000024C8: 76ADC53E
	v_mfma_f32_16x16x32_fp8_fp8 v[56:59], a[6:7], a[94:95], v[56:59]// 0000000024CC: D3F30038 1CE2BD06
	v_fmac_f32_e32 v87, v63, v226                              // 0000000024D4: 76AFC53F
	v_mfma_f32_16x16x32_fp8_fp8 v[60:63], a[8:9], a[88:89], 0  // 0000000024D8: D3F3003C 1A02B108
	buffer_load_dwordx4 a[60:63], v7, s[20:23], 0 offen offset:1024// 0000000024E0: E05C1400 80853C07
	v_fmac_f32_e32 v88, v56, v227                              // 0000000024E8: 76B1C738
	v_mfma_f32_16x16x32_fp8_fp8 v[60:63], a[10:11], a[90:91], v[60:63]// 0000000024EC: D3F3003C 1CF2B50A
	v_fmac_f32_e32 v89, v57, v227                              // 0000000024F4: 76B3C739
	v_mfma_f32_16x16x32_fp8_fp8 v[60:63], a[12:13], a[92:93], v[60:63]// 0000000024F8: D3F3003C 1CF2B90C
	v_fmac_f32_e32 v90, v58, v227                              // 000000002500: 76B5C73A
	v_mfma_f32_16x16x32_fp8_fp8 v[60:63], a[14:15], a[94:95], v[60:63]// 000000002504: D3F3003C 1CF2BD0E
	v_fmac_f32_e32 v91, v59, v227                              // 00000000250C: 76B7C73B
	v_mfma_f32_16x16x32_fp8_fp8 v[56:59], a[0:1], a[96:97], 0  // 000000002510: D3F30038 1A02C100
	buffer_load_dword v232, v24, s[24:27], 0 offen             // 000000002518: E0501000 8006E818
	v_fmac_f32_e32 v92, v60, v227                              // 000000002520: 76B9C73C
	v_mfma_f32_16x16x32_fp8_fp8 v[56:59], a[2:3], a[98:99], v[56:59]// 000000002524: D3F30038 1CE2C502
	v_fmac_f32_e32 v93, v61, v227                              // 00000000252C: 76BBC73D
	v_mfma_f32_16x16x32_fp8_fp8 v[56:59], a[4:5], a[100:101], v[56:59]// 000000002530: D3F30038 1CE2C904
	v_fmac_f32_e32 v94, v62, v227                              // 000000002538: 76BDC73E
	v_mfma_f32_16x16x32_fp8_fp8 v[56:59], a[6:7], a[102:103], v[56:59]// 00000000253C: D3F30038 1CE2CD06
	v_fmac_f32_e32 v95, v63, v227                              // 000000002544: 76BFC73F
	v_mfma_f32_16x16x32_fp8_fp8 v[60:63], a[8:9], a[96:97], 0  // 000000002548: D3F3003C 1A02C108
	buffer_load_dword v233, v24, s[24:27], 0 offen offset:64   // 000000002550: E0501040 8006E918
	v_fmac_f32_e32 v96, v56, v228                              // 000000002558: 76C1C938
	v_mfma_f32_16x16x32_fp8_fp8 v[60:63], a[10:11], a[98:99], v[60:63]// 00000000255C: D3F3003C 1CF2C50A
	v_fmac_f32_e32 v97, v57, v228                              // 000000002564: 76C3C939
	v_mfma_f32_16x16x32_fp8_fp8 v[60:63], a[12:13], a[100:101], v[60:63]// 000000002568: D3F3003C 1CF2C90C
	v_fmac_f32_e32 v98, v58, v228                              // 000000002570: 76C5C93A
	v_mfma_f32_16x16x32_fp8_fp8 v[60:63], a[14:15], a[102:103], v[60:63]// 000000002574: D3F3003C 1CF2CD0E
	v_fmac_f32_e32 v99, v59, v228                              // 00000000257C: 76C7C93B
	v_mfma_f32_16x16x32_fp8_fp8 v[56:59], a[0:1], a[104:105], 0// 000000002580: D3F30038 1A02D100
	buffer_load_dword v234, v24, s[24:27], 0 offen offset:128  // 000000002588: E0501080 8006EA18
	v_fmac_f32_e32 v100, v60, v228                             // 000000002590: 76C9C93C
	v_mfma_f32_16x16x32_fp8_fp8 v[56:59], a[2:3], a[106:107], v[56:59]// 000000002594: D3F30038 1CE2D502
	v_fmac_f32_e32 v101, v61, v228                             // 00000000259C: 76CBC93D
	v_mfma_f32_16x16x32_fp8_fp8 v[56:59], a[4:5], a[108:109], v[56:59]// 0000000025A0: D3F30038 1CE2D904
	v_fmac_f32_e32 v102, v62, v228                             // 0000000025A8: 76CDC93E
	v_mfma_f32_16x16x32_fp8_fp8 v[56:59], a[6:7], a[110:111], v[56:59]// 0000000025AC: D3F30038 1CE2DD06
	v_fmac_f32_e32 v103, v63, v228                             // 0000000025B4: 76CFC93F
	v_mfma_f32_16x16x32_fp8_fp8 v[60:63], a[8:9], a[104:105], 0// 0000000025B8: D3F3003C 1A02D108
	buffer_load_dword v235, v24, s[24:27], 0 offen offset:192  // 0000000025C0: E05010C0 8006EB18
	v_fmac_f32_e32 v104, v56, v229                             // 0000000025C8: 76D1CB38
	v_mfma_f32_16x16x32_fp8_fp8 v[60:63], a[10:11], a[106:107], v[60:63]// 0000000025CC: D3F3003C 1CF2D50A
	v_fmac_f32_e32 v105, v57, v229                             // 0000000025D4: 76D3CB39
	v_mfma_f32_16x16x32_fp8_fp8 v[60:63], a[12:13], a[108:109], v[60:63]// 0000000025D8: D3F3003C 1CF2D90C
	v_fmac_f32_e32 v106, v58, v229                             // 0000000025E0: 76D5CB3A
	v_mfma_f32_16x16x32_fp8_fp8 v[60:63], a[14:15], a[110:111], v[60:63]// 0000000025E4: D3F3003C 1CF2DD0E
	v_fmac_f32_e32 v107, v59, v229                             // 0000000025EC: 76D7CB3B
	v_mfma_f32_16x16x32_fp8_fp8 v[56:59], a[0:1], a[112:113], 0// 0000000025F0: D3F30038 1A02E100
	buffer_load_dword v236, v24, s[24:27], 0 offen offset:256  // 0000000025F8: E0501100 8006EC18
	v_fmac_f32_e32 v108, v60, v229                             // 000000002600: 76D9CB3C
	v_mfma_f32_16x16x32_fp8_fp8 v[56:59], a[2:3], a[114:115], v[56:59]// 000000002604: D3F30038 1CE2E502
	v_fmac_f32_e32 v109, v61, v229                             // 00000000260C: 76DBCB3D
	v_mfma_f32_16x16x32_fp8_fp8 v[56:59], a[4:5], a[116:117], v[56:59]// 000000002610: D3F30038 1CE2E904
	v_fmac_f32_e32 v110, v62, v229                             // 000000002618: 76DDCB3E
	v_mfma_f32_16x16x32_fp8_fp8 v[56:59], a[6:7], a[118:119], v[56:59]// 00000000261C: D3F30038 1CE2ED06
	v_fmac_f32_e32 v111, v63, v229                             // 000000002624: 76DFCB3F
	v_mfma_f32_16x16x32_fp8_fp8 v[60:63], a[8:9], a[112:113], 0// 000000002628: D3F3003C 1A02E108
	buffer_load_dword v237, v24, s[24:27], 0 offen offset:320  // 000000002630: E0501140 8006ED18
	v_fmac_f32_e32 v112, v56, v230                             // 000000002638: 76E1CD38
	v_mfma_f32_16x16x32_fp8_fp8 v[60:63], a[10:11], a[114:115], v[60:63]// 00000000263C: D3F3003C 1CF2E50A
	v_fmac_f32_e32 v113, v57, v230                             // 000000002644: 76E3CD39
	v_mfma_f32_16x16x32_fp8_fp8 v[60:63], a[12:13], a[116:117], v[60:63]// 000000002648: D3F3003C 1CF2E90C
	v_fmac_f32_e32 v114, v58, v230                             // 000000002650: 76E5CD3A
	v_mfma_f32_16x16x32_fp8_fp8 v[60:63], a[14:15], a[118:119], v[60:63]// 000000002654: D3F3003C 1CF2ED0E
	v_fmac_f32_e32 v115, v59, v230                             // 00000000265C: 76E7CD3B
	v_mfma_f32_16x16x32_fp8_fp8 v[56:59], a[0:1], a[120:121], 0// 000000002660: D3F30038 1A02F100
	buffer_load_dword v238, v24, s[24:27], 0 offen offset:384  // 000000002668: E0501180 8006EE18
	v_fmac_f32_e32 v116, v60, v230                             // 000000002670: 76E9CD3C
	v_mfma_f32_16x16x32_fp8_fp8 v[56:59], a[2:3], a[122:123], v[56:59]// 000000002674: D3F30038 1CE2F502
	v_fmac_f32_e32 v117, v61, v230                             // 00000000267C: 76EBCD3D
	v_mfma_f32_16x16x32_fp8_fp8 v[56:59], a[4:5], a[124:125], v[56:59]// 000000002680: D3F30038 1CE2F904
	v_fmac_f32_e32 v118, v62, v230                             // 000000002688: 76EDCD3E
	v_mfma_f32_16x16x32_fp8_fp8 v[56:59], a[6:7], a[126:127], v[56:59]// 00000000268C: D3F30038 1CE2FD06
	v_fmac_f32_e32 v119, v63, v230                             // 000000002694: 76EFCD3F
	v_mfma_f32_16x16x32_fp8_fp8 v[60:63], a[8:9], a[120:121], 0// 000000002698: D3F3003C 1A02F108
	buffer_load_dword v239, v24, s[24:27], 0 offen offset:448  // 0000000026A0: E05011C0 8006EF18
	v_fmac_f32_e32 v120, v56, v231                             // 0000000026A8: 76F1CF38
	v_mfma_f32_16x16x32_fp8_fp8 v[60:63], a[10:11], a[122:123], v[60:63]// 0000000026AC: D3F3003C 1CF2F50A
	v_fmac_f32_e32 v121, v57, v231                             // 0000000026B4: 76F3CF39
	v_mfma_f32_16x16x32_fp8_fp8 v[60:63], a[12:13], a[124:125], v[60:63]// 0000000026B8: D3F3003C 1CF2F90C
	v_fmac_f32_e32 v122, v58, v231                             // 0000000026C0: 76F5CF3A
	v_mfma_f32_16x16x32_fp8_fp8 v[60:63], a[14:15], a[126:127], v[60:63]// 0000000026C4: D3F3003C 1CF2FD0E
	s_waitcnt vmcnt(16)                                        // 0000000026CC: BF8C4F70
	s_barrier                                                  // 0000000026D0: BF8A0000
	v_fmac_f32_e32 v123, v59, v231                             // 0000000026D4: 76F7CF3B
	v_mfma_f32_16x16x32_fp8_fp8 v[56:59], a[32:33], a[64:65], 0// 0000000026D8: D3F30038 1A028120
	ds_read_b128 a[128:131], v9 offset:18160                   // 0000000026E0: DBFE46F0 80000009
	v_fmac_f32_e32 v124, v60, v231                             // 0000000026E8: 76F9CF3C
	v_mfma_f32_16x16x32_fp8_fp8 v[56:59], a[34:35], a[66:67], v[56:59]// 0000000026EC: D3F30038 1CE28522
	buffer_load_dword v2, s[16:19], 0 offen lds                // 0000000026F4: E0511000 80040002
	s_add_u32 m0, s40, m0                                      // 0000000026FC: 807C7C28
	v_fmac_f32_e32 v125, v61, v231                             // 000000002700: 76FBCF3D
	v_mfma_f32_16x16x32_fp8_fp8 v[56:59], a[36:37], a[68:69], v[56:59]// 000000002704: D3F30038 1CE28924
	v_fmac_f32_e32 v126, v62, v231                             // 00000000270C: 76FDCF3E
	v_mfma_f32_16x16x32_fp8_fp8 v[56:59], a[38:39], a[70:71], v[56:59]// 000000002710: D3F30038 1CE28D26
	v_fmac_f32_e32 v127, v63, v231                             // 000000002718: 76FFCF3F
	v_mfma_f32_16x16x32_fp8_fp8 v[60:63], a[40:41], a[64:65], 0// 00000000271C: D3F3003C 1A028128
	ds_read_b128 a[132:135], v9 offset:18224                   // 000000002724: DBFE4730 84000009
	v_fmac_f32_e32 v128, v56, v240                             // 00000000272C: 7701E138
	v_mfma_f32_16x16x32_fp8_fp8 v[60:63], a[42:43], a[66:67], v[60:63]// 000000002730: D3F3003C 1CF2852A
	buffer_load_dword v3, s[16:19], 0 offen lds                // 000000002738: E0511000 80040003
	s_add_u32 m0, s40, m0                                      // 000000002740: 807C7C28
	v_fmac_f32_e32 v129, v57, v240                             // 000000002744: 7703E139
	v_mfma_f32_16x16x32_fp8_fp8 v[60:63], a[44:45], a[68:69], v[60:63]// 000000002748: D3F3003C 1CF2892C
	v_fmac_f32_e32 v130, v58, v240                             // 000000002750: 7705E13A
	v_mfma_f32_16x16x32_fp8_fp8 v[60:63], a[46:47], a[70:71], v[60:63]// 000000002754: D3F3003C 1CF28D2E
	v_fmac_f32_e32 v131, v59, v240                             // 00000000275C: 7707E13B
	v_mfma_f32_16x16x32_fp8_fp8 v[56:59], a[32:33], a[72:73], 0// 000000002760: D3F30038 1A029120
	ds_read_b128 a[136:139], v9 offset:20432                   // 000000002768: DBFE4FD0 88000009
	v_fmac_f32_e32 v132, v60, v240                             // 000000002770: 7709E13C
	v_mfma_f32_16x16x32_fp8_fp8 v[56:59], a[34:35], a[74:75], v[56:59]// 000000002774: D3F30038 1CE29522
	buffer_load_dword v10, s[16:19], 0 offen lds               // 00000000277C: E0511000 8004000A
	s_add_u32 m0, s40, m0                                      // 000000002784: 807C7C28
	v_fmac_f32_e32 v133, v61, v240                             // 000000002788: 770BE13D
	v_mfma_f32_16x16x32_fp8_fp8 v[56:59], a[36:37], a[76:77], v[56:59]// 00000000278C: D3F30038 1CE29924
	v_fmac_f32_e32 v134, v62, v240                             // 000000002794: 770DE13E
	v_mfma_f32_16x16x32_fp8_fp8 v[56:59], a[38:39], a[78:79], v[56:59]// 000000002798: D3F30038 1CE29D26
	v_fmac_f32_e32 v135, v63, v240                             // 0000000027A0: 770FE13F
	v_mfma_f32_16x16x32_fp8_fp8 v[60:63], a[40:41], a[72:73], 0// 0000000027A4: D3F3003C 1A029128
	ds_read_b128 a[140:143], v9 offset:20496                   // 0000000027AC: DBFE5010 8C000009
	v_fmac_f32_e32 v136, v56, v241                             // 0000000027B4: 7711E338
	v_mfma_f32_16x16x32_fp8_fp8 v[60:63], a[42:43], a[74:75], v[60:63]// 0000000027B8: D3F3003C 1CF2952A
	buffer_load_dword v11, s[16:19], 0 offen lds               // 0000000027C0: E0511000 8004000B
	s_add_u32 m0, s40, m0                                      // 0000000027C8: 807C7C28
	v_fmac_f32_e32 v137, v57, v241                             // 0000000027CC: 7713E339
	v_mfma_f32_16x16x32_fp8_fp8 v[60:63], a[44:45], a[76:77], v[60:63]// 0000000027D0: D3F3003C 1CF2992C
	v_fmac_f32_e32 v138, v58, v241                             // 0000000027D8: 7715E33A
	v_mfma_f32_16x16x32_fp8_fp8 v[60:63], a[46:47], a[78:79], v[60:63]// 0000000027DC: D3F3003C 1CF29D2E
	v_fmac_f32_e32 v139, v59, v241                             // 0000000027E4: 7717E33B
	v_mfma_f32_16x16x32_fp8_fp8 v[56:59], a[32:33], a[80:81], 0// 0000000027E8: D3F30038 1A02A120
	ds_read_b128 a[144:147], v9 offset:22704                   // 0000000027F0: DBFE58B0 90000009
	v_fmac_f32_e32 v140, v60, v241                             // 0000000027F8: 7719E33C
	v_mfma_f32_16x16x32_fp8_fp8 v[56:59], a[34:35], a[82:83], v[56:59]// 0000000027FC: D3F30038 1CE2A522
	buffer_load_dword v12, s[16:19], 0 offen lds               // 000000002804: E0511000 8004000C
	s_add_u32 m0, s40, m0                                      // 00000000280C: 807C7C28
	v_fmac_f32_e32 v141, v61, v241                             // 000000002810: 771BE33D
	v_mfma_f32_16x16x32_fp8_fp8 v[56:59], a[36:37], a[84:85], v[56:59]// 000000002814: D3F30038 1CE2A924
	v_fmac_f32_e32 v142, v62, v241                             // 00000000281C: 771DE33E
	v_mfma_f32_16x16x32_fp8_fp8 v[56:59], a[38:39], a[86:87], v[56:59]// 000000002820: D3F30038 1CE2AD26
	v_fmac_f32_e32 v143, v63, v241                             // 000000002828: 771FE33F
	v_mfma_f32_16x16x32_fp8_fp8 v[60:63], a[40:41], a[80:81], 0// 00000000282C: D3F3003C 1A02A128
	ds_read_b128 a[148:151], v9 offset:22768                   // 000000002834: DBFE58F0 94000009
	v_fmac_f32_e32 v144, v56, v242                             // 00000000283C: 7721E538
	v_mfma_f32_16x16x32_fp8_fp8 v[60:63], a[42:43], a[82:83], v[60:63]// 000000002840: D3F3003C 1CF2A52A
	buffer_load_dword v13, s[16:19], 0 offen lds               // 000000002848: E0511000 8004000D
	s_add_u32 m0, s40, m0                                      // 000000002850: 807C7C28
	v_fmac_f32_e32 v145, v57, v242                             // 000000002854: 7723E539
	v_mfma_f32_16x16x32_fp8_fp8 v[60:63], a[44:45], a[84:85], v[60:63]// 000000002858: D3F3003C 1CF2A92C
	v_fmac_f32_e32 v146, v58, v242                             // 000000002860: 7725E53A
	v_mfma_f32_16x16x32_fp8_fp8 v[60:63], a[46:47], a[86:87], v[60:63]// 000000002864: D3F3003C 1CF2AD2E
	v_fmac_f32_e32 v147, v59, v242                             // 00000000286C: 7727E53B
	v_mfma_f32_16x16x32_fp8_fp8 v[56:59], a[32:33], a[88:89], 0// 000000002870: D3F30038 1A02B120
	ds_read_b128 a[152:155], v9 offset:24976                   // 000000002878: DBFE6190 98000009
	v_fmac_f32_e32 v148, v60, v242                             // 000000002880: 7729E53C
	v_mfma_f32_16x16x32_fp8_fp8 v[56:59], a[34:35], a[90:91], v[56:59]// 000000002884: D3F30038 1CE2B522
	buffer_load_dword v14, s[16:19], 0 offen lds               // 00000000288C: E0511000 8004000E
	s_add_u32 m0, s40, m0                                      // 000000002894: 807C7C28
	v_fmac_f32_e32 v149, v61, v242                             // 000000002898: 772BE53D
	v_mfma_f32_16x16x32_fp8_fp8 v[56:59], a[36:37], a[92:93], v[56:59]// 00000000289C: D3F30038 1CE2B924
	v_fmac_f32_e32 v150, v62, v242                             // 0000000028A4: 772DE53E
	v_mfma_f32_16x16x32_fp8_fp8 v[56:59], a[38:39], a[94:95], v[56:59]// 0000000028A8: D3F30038 1CE2BD26
	v_fmac_f32_e32 v151, v63, v242                             // 0000000028B0: 772FE53F
	v_mfma_f32_16x16x32_fp8_fp8 v[60:63], a[40:41], a[88:89], 0// 0000000028B4: D3F3003C 1A02B128
	ds_read_b128 a[156:159], v9 offset:25040                   // 0000000028BC: DBFE61D0 9C000009
	v_fmac_f32_e32 v152, v56, v243                             // 0000000028C4: 7731E738
	v_mfma_f32_16x16x32_fp8_fp8 v[60:63], a[42:43], a[90:91], v[60:63]// 0000000028C8: D3F3003C 1CF2B52A
	buffer_load_dword v15, s[16:19], 0 offen lds               // 0000000028D0: E0511000 8004000F
	s_add_u32 m0, s40, m0                                      // 0000000028D8: 807C7C28
	v_fmac_f32_e32 v153, v57, v243                             // 0000000028DC: 7733E739
	v_mfma_f32_16x16x32_fp8_fp8 v[60:63], a[44:45], a[92:93], v[60:63]// 0000000028E0: D3F3003C 1CF2B92C
	v_fmac_f32_e32 v154, v58, v243                             // 0000000028E8: 7735E73A
	v_mfma_f32_16x16x32_fp8_fp8 v[60:63], a[46:47], a[94:95], v[60:63]// 0000000028EC: D3F3003C 1CF2BD2E
	v_fmac_f32_e32 v155, v59, v243                             // 0000000028F4: 7737E73B
	v_mfma_f32_16x16x32_fp8_fp8 v[56:59], a[32:33], a[96:97], 0// 0000000028F8: D3F30038 1A02C120
	ds_read_b128 a[160:163], v9 offset:27248                   // 000000002900: DBFE6A70 A0000009
	v_fmac_f32_e32 v156, v60, v243                             // 000000002908: 7739E73C
	v_mfma_f32_16x16x32_fp8_fp8 v[56:59], a[34:35], a[98:99], v[56:59]// 00000000290C: D3F30038 1CE2C522
	buffer_load_dword v16, s[16:19], 0 offen lds               // 000000002914: E0511000 80040010
	s_add_u32 m0, s40, m0                                      // 00000000291C: 807C7C28
	v_fmac_f32_e32 v157, v61, v243                             // 000000002920: 773BE73D
	v_mfma_f32_16x16x32_fp8_fp8 v[56:59], a[36:37], a[100:101], v[56:59]// 000000002924: D3F30038 1CE2C924
	v_fmac_f32_e32 v158, v62, v243                             // 00000000292C: 773DE73E
	v_mfma_f32_16x16x32_fp8_fp8 v[56:59], a[38:39], a[102:103], v[56:59]// 000000002930: D3F30038 1CE2CD26
	v_fmac_f32_e32 v159, v63, v243                             // 000000002938: 773FE73F
	v_mfma_f32_16x16x32_fp8_fp8 v[60:63], a[40:41], a[96:97], 0// 00000000293C: D3F3003C 1A02C128
	ds_read_b128 a[164:167], v9 offset:27312                   // 000000002944: DBFE6AB0 A4000009
	v_fmac_f32_e32 v160, v56, v244                             // 00000000294C: 7741E938
	v_mfma_f32_16x16x32_fp8_fp8 v[60:63], a[42:43], a[98:99], v[60:63]// 000000002950: D3F3003C 1CF2C52A
	buffer_load_dword v17, s[16:19], 0 offen lds               // 000000002958: E0511000 80040011
	s_add_u32 m0, s40, m0                                      // 000000002960: 807C7C28
	v_fmac_f32_e32 v161, v57, v244                             // 000000002964: 7743E939
	v_mfma_f32_16x16x32_fp8_fp8 v[60:63], a[44:45], a[100:101], v[60:63]// 000000002968: D3F3003C 1CF2C92C
	v_fmac_f32_e32 v162, v58, v244                             // 000000002970: 7745E93A
	v_mfma_f32_16x16x32_fp8_fp8 v[60:63], a[46:47], a[102:103], v[60:63]// 000000002974: D3F3003C 1CF2CD2E
	v_fmac_f32_e32 v163, v59, v244                             // 00000000297C: 7747E93B
	v_mfma_f32_16x16x32_fp8_fp8 v[56:59], a[32:33], a[104:105], 0// 000000002980: D3F30038 1A02D120
	ds_read_b128 a[168:171], v9 offset:29520                   // 000000002988: DBFE7350 A8000009
	v_fmac_f32_e32 v164, v60, v244                             // 000000002990: 7749E93C
	v_mfma_f32_16x16x32_fp8_fp8 v[56:59], a[34:35], a[106:107], v[56:59]// 000000002994: D3F30038 1CE2D522
	buffer_load_dword v18, s[16:19], 0 offen lds               // 00000000299C: E0511000 80040012
	s_add_u32 m0, s40, m0                                      // 0000000029A4: 807C7C28
	v_fmac_f32_e32 v165, v61, v244                             // 0000000029A8: 774BE93D
	v_mfma_f32_16x16x32_fp8_fp8 v[56:59], a[36:37], a[108:109], v[56:59]// 0000000029AC: D3F30038 1CE2D924
	v_fmac_f32_e32 v166, v62, v244                             // 0000000029B4: 774DE93E
	v_mfma_f32_16x16x32_fp8_fp8 v[56:59], a[38:39], a[110:111], v[56:59]// 0000000029B8: D3F30038 1CE2DD26
	v_fmac_f32_e32 v167, v63, v244                             // 0000000029C0: 774FE93F
	v_mfma_f32_16x16x32_fp8_fp8 v[60:63], a[40:41], a[104:105], 0// 0000000029C4: D3F3003C 1A02D128
	ds_read_b128 a[172:175], v9 offset:29584                   // 0000000029CC: DBFE7390 AC000009
	v_fmac_f32_e32 v168, v56, v245                             // 0000000029D4: 7751EB38
	v_mfma_f32_16x16x32_fp8_fp8 v[60:63], a[42:43], a[106:107], v[60:63]// 0000000029D8: D3F3003C 1CF2D52A
	buffer_load_dword v19, s[16:19], 0 offen lds               // 0000000029E0: E0511000 80040013
	s_add_u32 m0, s40, m0                                      // 0000000029E8: 807C7C28
	v_fmac_f32_e32 v169, v57, v245                             // 0000000029EC: 7753EB39
	v_mfma_f32_16x16x32_fp8_fp8 v[60:63], a[44:45], a[108:109], v[60:63]// 0000000029F0: D3F3003C 1CF2D92C
	v_fmac_f32_e32 v170, v58, v245                             // 0000000029F8: 7755EB3A
	v_mfma_f32_16x16x32_fp8_fp8 v[60:63], a[46:47], a[110:111], v[60:63]// 0000000029FC: D3F3003C 1CF2DD2E
	v_fmac_f32_e32 v171, v59, v245                             // 000000002A04: 7757EB3B
	v_mfma_f32_16x16x32_fp8_fp8 v[56:59], a[32:33], a[112:113], 0// 000000002A08: D3F30038 1A02E120
	ds_read_b128 a[176:179], v9 offset:31792                   // 000000002A10: DBFE7C30 B0000009
	v_fmac_f32_e32 v172, v60, v245                             // 000000002A18: 7759EB3C
	v_mfma_f32_16x16x32_fp8_fp8 v[56:59], a[34:35], a[114:115], v[56:59]// 000000002A1C: D3F30038 1CE2E522
	buffer_load_dword v20, s[16:19], 0 offen lds               // 000000002A24: E0511000 80040014
	s_add_u32 m0, s40, m0                                      // 000000002A2C: 807C7C28
	v_fmac_f32_e32 v173, v61, v245                             // 000000002A30: 775BEB3D
	v_mfma_f32_16x16x32_fp8_fp8 v[56:59], a[36:37], a[116:117], v[56:59]// 000000002A34: D3F30038 1CE2E924
	v_fmac_f32_e32 v174, v62, v245                             // 000000002A3C: 775DEB3E
	v_mfma_f32_16x16x32_fp8_fp8 v[56:59], a[38:39], a[118:119], v[56:59]// 000000002A40: D3F30038 1CE2ED26
	v_fmac_f32_e32 v175, v63, v245                             // 000000002A48: 775FEB3F
	v_mfma_f32_16x16x32_fp8_fp8 v[60:63], a[40:41], a[112:113], 0// 000000002A4C: D3F3003C 1A02E128
	ds_read_b128 a[180:183], v9 offset:31856                   // 000000002A54: DBFE7C70 B4000009
	v_fmac_f32_e32 v176, v56, v246                             // 000000002A5C: 7761ED38
	v_mfma_f32_16x16x32_fp8_fp8 v[60:63], a[42:43], a[114:115], v[60:63]// 000000002A60: D3F3003C 1CF2E52A
	buffer_load_dword v21, s[16:19], 0 offen lds               // 000000002A68: E0511000 80040015
	s_add_u32 m0, s40, m0                                      // 000000002A70: 807C7C28
	v_fmac_f32_e32 v177, v57, v246                             // 000000002A74: 7763ED39
	v_mfma_f32_16x16x32_fp8_fp8 v[60:63], a[44:45], a[116:117], v[60:63]// 000000002A78: D3F3003C 1CF2E92C
	v_fmac_f32_e32 v178, v58, v246                             // 000000002A80: 7765ED3A
	v_mfma_f32_16x16x32_fp8_fp8 v[60:63], a[46:47], a[118:119], v[60:63]// 000000002A84: D3F3003C 1CF2ED2E
	v_fmac_f32_e32 v179, v59, v246                             // 000000002A8C: 7767ED3B
	v_mfma_f32_16x16x32_fp8_fp8 v[56:59], a[32:33], a[120:121], 0// 000000002A90: D3F30038 1A02F120
	ds_read_b128 a[184:187], v9 offset:34064                   // 000000002A98: DBFE8510 B8000009
	v_fmac_f32_e32 v180, v60, v246                             // 000000002AA0: 7769ED3C
	v_mfma_f32_16x16x32_fp8_fp8 v[56:59], a[34:35], a[122:123], v[56:59]// 000000002AA4: D3F30038 1CE2F522
	buffer_load_dword v22, s[16:19], 0 offen lds               // 000000002AAC: E0511000 80040016
	s_add_u32 m0, s40, m0                                      // 000000002AB4: 807C7C28
	v_fmac_f32_e32 v181, v61, v246                             // 000000002AB8: 776BED3D
	v_mfma_f32_16x16x32_fp8_fp8 v[56:59], a[36:37], a[124:125], v[56:59]// 000000002ABC: D3F30038 1CE2F924
	v_fmac_f32_e32 v182, v62, v246                             // 000000002AC4: 776DED3E
	v_mfma_f32_16x16x32_fp8_fp8 v[56:59], a[38:39], a[126:127], v[56:59]// 000000002AC8: D3F30038 1CE2FD26
	v_fmac_f32_e32 v183, v63, v246                             // 000000002AD0: 776FED3F
	v_mfma_f32_16x16x32_fp8_fp8 v[60:63], a[40:41], a[120:121], 0// 000000002AD4: D3F3003C 1A02F128
	ds_read_b128 a[188:191], v9 offset:34128                   // 000000002ADC: DBFE8550 BC000009
	v_fmac_f32_e32 v184, v56, v247                             // 000000002AE4: 7771EF38
	v_mfma_f32_16x16x32_fp8_fp8 v[60:63], a[42:43], a[122:123], v[60:63]// 000000002AE8: D3F3003C 1CF2F52A
	buffer_load_dword v23, s[16:19], 0 offen lds               // 000000002AF0: E0511000 80040017
	v_fmac_f32_e32 v185, v57, v247                             // 000000002AF8: 7773EF39
	v_mfma_f32_16x16x32_fp8_fp8 v[60:63], a[44:45], a[124:125], v[60:63]// 000000002AFC: D3F3003C 1CF2F92C
	v_fmac_f32_e32 v186, v58, v247                             // 000000002B04: 7775EF3A
	v_mfma_f32_16x16x32_fp8_fp8 v[60:63], a[46:47], a[126:127], v[60:63]// 000000002B08: D3F3003C 1CF2FD2E
	v_fmac_f32_e32 v187, v59, v247                             // 000000002B10: 7777EF3B
	s_cmp_gt_i32 s38, 2                                        // 000000002B14: BF028226
	s_cselect_b32 s86, s41, 0                                  // 000000002B18: 85568029
	v_fmac_f32_e32 v188, v60, v247                             // 000000002B1C: 7779EF3C
	v_fmac_f32_e32 v189, v61, v247                             // 000000002B20: 777BEF3D
	v_fmac_f32_e32 v190, v62, v247                             // 000000002B24: 777DEF3E
	v_fmac_f32_e32 v191, v63, v247                             // 000000002B28: 777FEF3F
	s_sub_i32 s38, s38, 1                                      // 000000002B2C: 81A68126
	s_cmp_gt_i32 s38, 0                                        // 000000002B30: BF028026
	s_cbranch_scc0 L_end0                                      // 000000002B34: BF84022B
	s_add_u32 s16, s86, s16                                    // 000000002B38: 80101056
	s_addc_u32 s17, 0, s17                                     // 000000002B3C: 82111180
	s_cmp_gt_i32 s38, 1                                        // 000000002B40: BF028126
	s_cselect_b32 s86, s44, 0                                  // 000000002B44: 8556802C
	s_add_u32 s20, s86, s20                                    // 000000002B48: 80141456
	s_addc_u32 s21, 0, s21                                     // 000000002B4C: 82151580
	s_cmp_gt_i32 s38, 1                                        // 000000002B50: BF028126
	s_cselect_b32 s86, s4, 0                                   // 000000002B54: 85568004
	s_add_u32 s24, s86, s24                                    // 000000002B58: 80181856
	s_addc_u32 s25, 0, s25                                     // 000000002B5C: 82191980
	s_cmp_gt_i32 s38, 1                                        // 000000002B60: BF028126
	s_cselect_b32 s86, s43, 0                                  // 000000002B64: 8556802B
	s_add_u32 s28, s86, s28                                    // 000000002B68: 801C1C56
	s_addc_u32 s29, 0, s29                                     // 000000002B6C: 821D1D80
	s_waitcnt lgkmcnt(0)                                       // 000000002B70: BF8CC07F
	s_waitcnt vmcnt(16)                                        // 000000002B74: BF8C4F70
	s_add_u32 m0, s39, 0x46f0                                  // 000000002B78: 807CFF27 000046F0
	s_load_dwordx2 s[30:31], s[28:29], 0x0                     // 000000002B80: C006078E 00000000
	v_mov_b32_e32 v50, s85                                     // 000000002B88: 7E640255
	v_mul_f32_e32 v248, v232, v50                              // 000000002B8C: 0BF065E8
	v_mul_f32_e32 v249, v233, v50                              // 000000002B90: 0BF265E9
	v_mul_f32_e32 v250, v234, v50                              // 000000002B94: 0BF465EA
	v_mul_f32_e32 v251, v235, v50                              // 000000002B98: 0BF665EB
	v_mul_f32_e32 v252, v236, v50                              // 000000002B9C: 0BF865EC
	v_mul_f32_e32 v253, v237, v50                              // 000000002BA0: 0BFA65ED
	v_mul_f32_e32 v254, v238, v50                              // 000000002BA4: 0BFC65EE
	v_mul_f32_e32 v255, v239, v50                              // 000000002BA8: 0BFE65EF
	v_mov_b32_e32 v50, s84                                     // 000000002BAC: 7E640254
	v_mul_f32_e32 v232, v232, v50                              // 000000002BB0: 0BD065E8
	v_mul_f32_e32 v233, v233, v50                              // 000000002BB4: 0BD265E9
	v_mul_f32_e32 v234, v234, v50                              // 000000002BB8: 0BD465EA
	v_mul_f32_e32 v235, v235, v50                              // 000000002BBC: 0BD665EB
	v_mul_f32_e32 v236, v236, v50                              // 000000002BC0: 0BD865EC
	v_mul_f32_e32 v237, v237, v50                              // 000000002BC4: 0BDA65ED
	v_mul_f32_e32 v238, v238, v50                              // 000000002BC8: 0BDC65EE
	v_mul_f32_e32 v239, v239, v50                              // 000000002BCC: 0BDE65EF
	v_mfma_f32_16x16x32_fp8_fp8 v[56:59], a[16:17], a[128:129], 0// 000000002BD0: D3F30038 1A030110
	buffer_load_dwordx4 a[0:3], v4, s[20:23], 0 offen          // 000000002BD8: E05C1000 80850004
	v_mfma_f32_16x16x32_fp8_fp8 v[56:59], a[18:19], a[130:131], v[56:59]// 000000002BE0: D3F30038 1CE30512
	v_mfma_f32_16x16x32_fp8_fp8 v[56:59], a[20:21], a[132:133], v[56:59]// 000000002BE8: D3F30038 1CE30914
	v_mfma_f32_16x16x32_fp8_fp8 v[56:59], a[22:23], a[134:135], v[56:59]// 000000002BF0: D3F30038 1CE30D16
	v_mfma_f32_16x16x32_fp8_fp8 v[60:63], a[24:25], a[128:129], 0// 000000002BF8: D3F3003C 1A030118
	buffer_load_dwordx4 a[4:7], v4, s[20:23], 0 offen offset:1024// 000000002C00: E05C1400 80850404
	v_fmac_f32_e32 v64, v56, v232                              // 000000002C08: 7681D138
	v_mfma_f32_16x16x32_fp8_fp8 v[60:63], a[26:27], a[130:131], v[60:63]// 000000002C0C: D3F3003C 1CF3051A
	v_fmac_f32_e32 v65, v57, v232                              // 000000002C14: 7683D139
	v_mfma_f32_16x16x32_fp8_fp8 v[60:63], a[28:29], a[132:133], v[60:63]// 000000002C18: D3F3003C 1CF3091C
	v_fmac_f32_e32 v66, v58, v232                              // 000000002C20: 7685D13A
	v_mfma_f32_16x16x32_fp8_fp8 v[60:63], a[30:31], a[134:135], v[60:63]// 000000002C24: D3F3003C 1CF30D1E
	v_fmac_f32_e32 v67, v59, v232                              // 000000002C2C: 7687D13B
	v_mfma_f32_16x16x32_fp8_fp8 v[56:59], a[16:17], a[136:137], 0// 000000002C30: D3F30038 1A031110
	buffer_load_dwordx4 a[8:11], v5, s[20:23], 0 offen         // 000000002C38: E05C1000 80850805
	v_fmac_f32_e32 v68, v60, v232                              // 000000002C40: 7689D13C
	v_mfma_f32_16x16x32_fp8_fp8 v[56:59], a[18:19], a[138:139], v[56:59]// 000000002C44: D3F30038 1CE31512
	v_fmac_f32_e32 v69, v61, v232                              // 000000002C4C: 768BD13D
	v_mfma_f32_16x16x32_fp8_fp8 v[56:59], a[20:21], a[140:141], v[56:59]// 000000002C50: D3F30038 1CE31914
	v_fmac_f32_e32 v70, v62, v232                              // 000000002C58: 768DD13E
	v_mfma_f32_16x16x32_fp8_fp8 v[56:59], a[22:23], a[142:143], v[56:59]// 000000002C5C: D3F30038 1CE31D16
	v_fmac_f32_e32 v71, v63, v232                              // 000000002C64: 768FD13F
	v_mfma_f32_16x16x32_fp8_fp8 v[60:63], a[24:25], a[136:137], 0// 000000002C68: D3F3003C 1A031118
	buffer_load_dwordx4 a[12:15], v5, s[20:23], 0 offen offset:1024// 000000002C70: E05C1400 80850C05
	v_fmac_f32_e32 v72, v56, v233                              // 000000002C78: 7691D338
	v_mfma_f32_16x16x32_fp8_fp8 v[60:63], a[26:27], a[138:139], v[60:63]// 000000002C7C: D3F3003C 1CF3151A
	v_fmac_f32_e32 v73, v57, v233                              // 000000002C84: 7693D339
	v_mfma_f32_16x16x32_fp8_fp8 v[60:63], a[28:29], a[140:141], v[60:63]// 000000002C88: D3F3003C 1CF3191C
	v_fmac_f32_e32 v74, v58, v233                              // 000000002C90: 7695D33A
	v_mfma_f32_16x16x32_fp8_fp8 v[60:63], a[30:31], a[142:143], v[60:63]// 000000002C94: D3F3003C 1CF31D1E
	v_fmac_f32_e32 v75, v59, v233                              // 000000002C9C: 7697D33B
	v_mfma_f32_16x16x32_fp8_fp8 v[56:59], a[16:17], a[144:145], 0// 000000002CA0: D3F30038 1A032110
	buffer_load_dwordx4 a[32:35], v6, s[20:23], 0 offen        // 000000002CA8: E05C1000 80852006
	v_fmac_f32_e32 v76, v60, v233                              // 000000002CB0: 7699D33C
	v_mfma_f32_16x16x32_fp8_fp8 v[56:59], a[18:19], a[146:147], v[56:59]// 000000002CB4: D3F30038 1CE32512
	v_fmac_f32_e32 v77, v61, v233                              // 000000002CBC: 769BD33D
	v_mfma_f32_16x16x32_fp8_fp8 v[56:59], a[20:21], a[148:149], v[56:59]// 000000002CC0: D3F30038 1CE32914
	v_fmac_f32_e32 v78, v62, v233                              // 000000002CC8: 769DD33E
	v_mfma_f32_16x16x32_fp8_fp8 v[56:59], a[22:23], a[150:151], v[56:59]// 000000002CCC: D3F30038 1CE32D16
	v_fmac_f32_e32 v79, v63, v233                              // 000000002CD4: 769FD33F
	v_mfma_f32_16x16x32_fp8_fp8 v[60:63], a[24:25], a[144:145], 0// 000000002CD8: D3F3003C 1A032118
	buffer_load_dwordx4 a[36:39], v6, s[20:23], 0 offen offset:1024// 000000002CE0: E05C1400 80852406
	v_fmac_f32_e32 v80, v56, v234                              // 000000002CE8: 76A1D538
	v_mfma_f32_16x16x32_fp8_fp8 v[60:63], a[26:27], a[146:147], v[60:63]// 000000002CEC: D3F3003C 1CF3251A
	v_fmac_f32_e32 v81, v57, v234                              // 000000002CF4: 76A3D539
	v_mfma_f32_16x16x32_fp8_fp8 v[60:63], a[28:29], a[148:149], v[60:63]// 000000002CF8: D3F3003C 1CF3291C
	v_fmac_f32_e32 v82, v58, v234                              // 000000002D00: 76A5D53A
	v_mfma_f32_16x16x32_fp8_fp8 v[60:63], a[30:31], a[150:151], v[60:63]// 000000002D04: D3F3003C 1CF32D1E
	v_fmac_f32_e32 v83, v59, v234                              // 000000002D0C: 76A7D53B
	v_mfma_f32_16x16x32_fp8_fp8 v[56:59], a[16:17], a[152:153], 0// 000000002D10: D3F30038 1A033110
	buffer_load_dwordx4 a[40:43], v7, s[20:23], 0 offen        // 000000002D18: E05C1000 80852807
	v_fmac_f32_e32 v84, v60, v234                              // 000000002D20: 76A9D53C
	v_mfma_f32_16x16x32_fp8_fp8 v[56:59], a[18:19], a[154:155], v[56:59]// 000000002D24: D3F30038 1CE33512
	v_fmac_f32_e32 v85, v61, v234                              // 000000002D2C: 76ABD53D
	v_mfma_f32_16x16x32_fp8_fp8 v[56:59], a[20:21], a[156:157], v[56:59]// 000000002D30: D3F30038 1CE33914
	v_fmac_f32_e32 v86, v62, v234                              // 000000002D38: 76ADD53E
	v_mfma_f32_16x16x32_fp8_fp8 v[56:59], a[22:23], a[158:159], v[56:59]// 000000002D3C: D3F30038 1CE33D16
	v_fmac_f32_e32 v87, v63, v234                              // 000000002D44: 76AFD53F
	v_mfma_f32_16x16x32_fp8_fp8 v[60:63], a[24:25], a[152:153], 0// 000000002D48: D3F3003C 1A033118
	buffer_load_dwordx4 a[44:47], v7, s[20:23], 0 offen offset:1024// 000000002D50: E05C1400 80852C07
	v_fmac_f32_e32 v88, v56, v235                              // 000000002D58: 76B1D738
	v_mfma_f32_16x16x32_fp8_fp8 v[60:63], a[26:27], a[154:155], v[60:63]// 000000002D5C: D3F3003C 1CF3351A
	v_fmac_f32_e32 v89, v57, v235                              // 000000002D64: 76B3D739
	v_mfma_f32_16x16x32_fp8_fp8 v[60:63], a[28:29], a[156:157], v[60:63]// 000000002D68: D3F3003C 1CF3391C
	v_fmac_f32_e32 v90, v58, v235                              // 000000002D70: 76B5D73A
	v_mfma_f32_16x16x32_fp8_fp8 v[60:63], a[30:31], a[158:159], v[60:63]// 000000002D74: D3F3003C 1CF33D1E
	v_fmac_f32_e32 v91, v59, v235                              // 000000002D7C: 76B7D73B
	v_mfma_f32_16x16x32_fp8_fp8 v[56:59], a[16:17], a[160:161], 0// 000000002D80: D3F30038 1A034110
	buffer_load_dword v224, v24, s[24:27], 0 offen             // 000000002D88: E0501000 8006E018
	v_fmac_f32_e32 v92, v60, v235                              // 000000002D90: 76B9D73C
	v_mfma_f32_16x16x32_fp8_fp8 v[56:59], a[18:19], a[162:163], v[56:59]// 000000002D94: D3F30038 1CE34512
	v_fmac_f32_e32 v93, v61, v235                              // 000000002D9C: 76BBD73D
	v_mfma_f32_16x16x32_fp8_fp8 v[56:59], a[20:21], a[164:165], v[56:59]// 000000002DA0: D3F30038 1CE34914
	v_fmac_f32_e32 v94, v62, v235                              // 000000002DA8: 76BDD73E
	v_mfma_f32_16x16x32_fp8_fp8 v[56:59], a[22:23], a[166:167], v[56:59]// 000000002DAC: D3F30038 1CE34D16
	v_fmac_f32_e32 v95, v63, v235                              // 000000002DB4: 76BFD73F
	v_mfma_f32_16x16x32_fp8_fp8 v[60:63], a[24:25], a[160:161], 0// 000000002DB8: D3F3003C 1A034118
	buffer_load_dword v225, v24, s[24:27], 0 offen offset:64   // 000000002DC0: E0501040 8006E118
	v_fmac_f32_e32 v96, v56, v236                              // 000000002DC8: 76C1D938
	v_mfma_f32_16x16x32_fp8_fp8 v[60:63], a[26:27], a[162:163], v[60:63]// 000000002DCC: D3F3003C 1CF3451A
	v_fmac_f32_e32 v97, v57, v236                              // 000000002DD4: 76C3D939
	v_mfma_f32_16x16x32_fp8_fp8 v[60:63], a[28:29], a[164:165], v[60:63]// 000000002DD8: D3F3003C 1CF3491C
	v_fmac_f32_e32 v98, v58, v236                              // 000000002DE0: 76C5D93A
	v_mfma_f32_16x16x32_fp8_fp8 v[60:63], a[30:31], a[166:167], v[60:63]// 000000002DE4: D3F3003C 1CF34D1E
	v_fmac_f32_e32 v99, v59, v236                              // 000000002DEC: 76C7D93B
	v_mfma_f32_16x16x32_fp8_fp8 v[56:59], a[16:17], a[168:169], 0// 000000002DF0: D3F30038 1A035110
	buffer_load_dword v226, v24, s[24:27], 0 offen offset:128  // 000000002DF8: E0501080 8006E218
	v_fmac_f32_e32 v100, v60, v236                             // 000000002E00: 76C9D93C
	v_mfma_f32_16x16x32_fp8_fp8 v[56:59], a[18:19], a[170:171], v[56:59]// 000000002E04: D3F30038 1CE35512
	v_fmac_f32_e32 v101, v61, v236                             // 000000002E0C: 76CBD93D
	v_mfma_f32_16x16x32_fp8_fp8 v[56:59], a[20:21], a[172:173], v[56:59]// 000000002E10: D3F30038 1CE35914
	v_fmac_f32_e32 v102, v62, v236                             // 000000002E18: 76CDD93E
	v_mfma_f32_16x16x32_fp8_fp8 v[56:59], a[22:23], a[174:175], v[56:59]// 000000002E1C: D3F30038 1CE35D16
	v_fmac_f32_e32 v103, v63, v236                             // 000000002E24: 76CFD93F
	v_mfma_f32_16x16x32_fp8_fp8 v[60:63], a[24:25], a[168:169], 0// 000000002E28: D3F3003C 1A035118
	buffer_load_dword v227, v24, s[24:27], 0 offen offset:192  // 000000002E30: E05010C0 8006E318
	v_fmac_f32_e32 v104, v56, v237                             // 000000002E38: 76D1DB38
	v_mfma_f32_16x16x32_fp8_fp8 v[60:63], a[26:27], a[170:171], v[60:63]// 000000002E3C: D3F3003C 1CF3551A
	v_fmac_f32_e32 v105, v57, v237                             // 000000002E44: 76D3DB39
	v_mfma_f32_16x16x32_fp8_fp8 v[60:63], a[28:29], a[172:173], v[60:63]// 000000002E48: D3F3003C 1CF3591C
	v_fmac_f32_e32 v106, v58, v237                             // 000000002E50: 76D5DB3A
	v_mfma_f32_16x16x32_fp8_fp8 v[60:63], a[30:31], a[174:175], v[60:63]// 000000002E54: D3F3003C 1CF35D1E
	v_fmac_f32_e32 v107, v59, v237                             // 000000002E5C: 76D7DB3B
	v_mfma_f32_16x16x32_fp8_fp8 v[56:59], a[16:17], a[176:177], 0// 000000002E60: D3F30038 1A036110
	buffer_load_dword v228, v24, s[24:27], 0 offen offset:256  // 000000002E68: E0501100 8006E418
	v_fmac_f32_e32 v108, v60, v237                             // 000000002E70: 76D9DB3C
	v_mfma_f32_16x16x32_fp8_fp8 v[56:59], a[18:19], a[178:179], v[56:59]// 000000002E74: D3F30038 1CE36512
	v_fmac_f32_e32 v109, v61, v237                             // 000000002E7C: 76DBDB3D
	v_mfma_f32_16x16x32_fp8_fp8 v[56:59], a[20:21], a[180:181], v[56:59]// 000000002E80: D3F30038 1CE36914
	v_fmac_f32_e32 v110, v62, v237                             // 000000002E88: 76DDDB3E
	v_mfma_f32_16x16x32_fp8_fp8 v[56:59], a[22:23], a[182:183], v[56:59]// 000000002E8C: D3F30038 1CE36D16
	v_fmac_f32_e32 v111, v63, v237                             // 000000002E94: 76DFDB3F
	v_mfma_f32_16x16x32_fp8_fp8 v[60:63], a[24:25], a[176:177], 0// 000000002E98: D3F3003C 1A036118
	buffer_load_dword v229, v24, s[24:27], 0 offen offset:320  // 000000002EA0: E0501140 8006E518
	v_fmac_f32_e32 v112, v56, v238                             // 000000002EA8: 76E1DD38
	v_mfma_f32_16x16x32_fp8_fp8 v[60:63], a[26:27], a[178:179], v[60:63]// 000000002EAC: D3F3003C 1CF3651A
	v_fmac_f32_e32 v113, v57, v238                             // 000000002EB4: 76E3DD39
	v_mfma_f32_16x16x32_fp8_fp8 v[60:63], a[28:29], a[180:181], v[60:63]// 000000002EB8: D3F3003C 1CF3691C
	v_fmac_f32_e32 v114, v58, v238                             // 000000002EC0: 76E5DD3A
	v_mfma_f32_16x16x32_fp8_fp8 v[60:63], a[30:31], a[182:183], v[60:63]// 000000002EC4: D3F3003C 1CF36D1E
	v_fmac_f32_e32 v115, v59, v238                             // 000000002ECC: 76E7DD3B
	v_mfma_f32_16x16x32_fp8_fp8 v[56:59], a[16:17], a[184:185], 0// 000000002ED0: D3F30038 1A037110
	buffer_load_dword v230, v24, s[24:27], 0 offen offset:384  // 000000002ED8: E0501180 8006E618
	v_fmac_f32_e32 v116, v60, v238                             // 000000002EE0: 76E9DD3C
	v_mfma_f32_16x16x32_fp8_fp8 v[56:59], a[18:19], a[186:187], v[56:59]// 000000002EE4: D3F30038 1CE37512
	v_fmac_f32_e32 v117, v61, v238                             // 000000002EEC: 76EBDD3D
	v_mfma_f32_16x16x32_fp8_fp8 v[56:59], a[20:21], a[188:189], v[56:59]// 000000002EF0: D3F30038 1CE37914
	v_fmac_f32_e32 v118, v62, v238                             // 000000002EF8: 76EDDD3E
	v_mfma_f32_16x16x32_fp8_fp8 v[56:59], a[22:23], a[190:191], v[56:59]// 000000002EFC: D3F30038 1CE37D16
	v_fmac_f32_e32 v119, v63, v238                             // 000000002F04: 76EFDD3F
	v_mfma_f32_16x16x32_fp8_fp8 v[60:63], a[24:25], a[184:185], 0// 000000002F08: D3F3003C 1A037118
	buffer_load_dword v231, v24, s[24:27], 0 offen offset:448  // 000000002F10: E05011C0 8006E718
	v_fmac_f32_e32 v120, v56, v239                             // 000000002F18: 76F1DF38
	v_mfma_f32_16x16x32_fp8_fp8 v[60:63], a[26:27], a[186:187], v[60:63]// 000000002F1C: D3F3003C 1CF3751A
	v_fmac_f32_e32 v121, v57, v239                             // 000000002F24: 76F3DF39
	v_mfma_f32_16x16x32_fp8_fp8 v[60:63], a[28:29], a[188:189], v[60:63]// 000000002F28: D3F3003C 1CF3791C
	v_fmac_f32_e32 v122, v58, v239                             // 000000002F30: 76F5DF3A
	v_mfma_f32_16x16x32_fp8_fp8 v[60:63], a[30:31], a[190:191], v[60:63]// 000000002F34: D3F3003C 1CF37D1E
	s_waitcnt vmcnt(16)                                        // 000000002F3C: BF8C4F70
	s_barrier                                                  // 000000002F40: BF8A0000
	v_fmac_f32_e32 v123, v59, v239                             // 000000002F44: 76F7DF3B
	v_mfma_f32_16x16x32_fp8_fp8 v[56:59], a[48:49], a[128:129], 0// 000000002F48: D3F30038 1A030130
	ds_read_b128 a[64:67], v9                                  // 000000002F50: DBFE0000 40000009
	v_fmac_f32_e32 v124, v60, v239                             // 000000002F58: 76F9DF3C
	v_mfma_f32_16x16x32_fp8_fp8 v[56:59], a[50:51], a[130:131], v[56:59]// 000000002F5C: D3F30038 1CE30532
	buffer_load_dword v2, s[16:19], 0 offen lds                // 000000002F64: E0511000 80040002
	s_add_u32 m0, s40, m0                                      // 000000002F6C: 807C7C28
	v_fmac_f32_e32 v125, v61, v239                             // 000000002F70: 76FBDF3D
	v_mfma_f32_16x16x32_fp8_fp8 v[56:59], a[52:53], a[132:133], v[56:59]// 000000002F74: D3F30038 1CE30934
	v_fmac_f32_e32 v126, v62, v239                             // 000000002F7C: 76FDDF3E
	v_mfma_f32_16x16x32_fp8_fp8 v[56:59], a[54:55], a[134:135], v[56:59]// 000000002F80: D3F30038 1CE30D36
	v_fmac_f32_e32 v127, v63, v239                             // 000000002F88: 76FFDF3F
	v_mfma_f32_16x16x32_fp8_fp8 v[60:63], a[56:57], a[128:129], 0// 000000002F8C: D3F3003C 1A030138
	ds_read_b128 a[68:71], v9 offset:64                        // 000000002F94: DBFE0040 44000009
	v_fmac_f32_e32 v128, v56, v248                             // 000000002F9C: 7701F138
	v_mfma_f32_16x16x32_fp8_fp8 v[60:63], a[58:59], a[130:131], v[60:63]// 000000002FA0: D3F3003C 1CF3053A
	buffer_load_dword v3, s[16:19], 0 offen lds                // 000000002FA8: E0511000 80040003
	s_add_u32 m0, s40, m0                                      // 000000002FB0: 807C7C28
	v_fmac_f32_e32 v129, v57, v248                             // 000000002FB4: 7703F139
	v_mfma_f32_16x16x32_fp8_fp8 v[60:63], a[60:61], a[132:133], v[60:63]// 000000002FB8: D3F3003C 1CF3093C
	v_fmac_f32_e32 v130, v58, v248                             // 000000002FC0: 7705F13A
	v_mfma_f32_16x16x32_fp8_fp8 v[60:63], a[62:63], a[134:135], v[60:63]// 000000002FC4: D3F3003C 1CF30D3E
	v_fmac_f32_e32 v131, v59, v248                             // 000000002FCC: 7707F13B
	v_mfma_f32_16x16x32_fp8_fp8 v[56:59], a[48:49], a[136:137], 0// 000000002FD0: D3F30038 1A031130
	ds_read_b128 a[72:75], v9 offset:2272                      // 000000002FD8: DBFE08E0 48000009
	v_fmac_f32_e32 v132, v60, v248                             // 000000002FE0: 7709F13C
	v_mfma_f32_16x16x32_fp8_fp8 v[56:59], a[50:51], a[138:139], v[56:59]// 000000002FE4: D3F30038 1CE31532
	buffer_load_dword v10, s[16:19], 0 offen lds               // 000000002FEC: E0511000 8004000A
	s_add_u32 m0, s40, m0                                      // 000000002FF4: 807C7C28
	v_fmac_f32_e32 v133, v61, v248                             // 000000002FF8: 770BF13D
	v_mfma_f32_16x16x32_fp8_fp8 v[56:59], a[52:53], a[140:141], v[56:59]// 000000002FFC: D3F30038 1CE31934
	v_fmac_f32_e32 v134, v62, v248                             // 000000003004: 770DF13E
	v_mfma_f32_16x16x32_fp8_fp8 v[56:59], a[54:55], a[142:143], v[56:59]// 000000003008: D3F30038 1CE31D36
	v_fmac_f32_e32 v135, v63, v248                             // 000000003010: 770FF13F
	v_mfma_f32_16x16x32_fp8_fp8 v[60:63], a[56:57], a[136:137], 0// 000000003014: D3F3003C 1A031138
	ds_read_b128 a[76:79], v9 offset:2336                      // 00000000301C: DBFE0920 4C000009
	v_fmac_f32_e32 v136, v56, v249                             // 000000003024: 7711F338
	v_mfma_f32_16x16x32_fp8_fp8 v[60:63], a[58:59], a[138:139], v[60:63]// 000000003028: D3F3003C 1CF3153A
	buffer_load_dword v11, s[16:19], 0 offen lds               // 000000003030: E0511000 8004000B
	s_add_u32 m0, s40, m0                                      // 000000003038: 807C7C28
	v_fmac_f32_e32 v137, v57, v249                             // 00000000303C: 7713F339
	v_mfma_f32_16x16x32_fp8_fp8 v[60:63], a[60:61], a[140:141], v[60:63]// 000000003040: D3F3003C 1CF3193C
	v_fmac_f32_e32 v138, v58, v249                             // 000000003048: 7715F33A
	v_mfma_f32_16x16x32_fp8_fp8 v[60:63], a[62:63], a[142:143], v[60:63]// 00000000304C: D3F3003C 1CF31D3E
	v_fmac_f32_e32 v139, v59, v249                             // 000000003054: 7717F33B
	v_mfma_f32_16x16x32_fp8_fp8 v[56:59], a[48:49], a[144:145], 0// 000000003058: D3F30038 1A032130
	ds_read_b128 a[80:83], v9 offset:4544                      // 000000003060: DBFE11C0 50000009
	v_fmac_f32_e32 v140, v60, v249                             // 000000003068: 7719F33C
	v_mfma_f32_16x16x32_fp8_fp8 v[56:59], a[50:51], a[146:147], v[56:59]// 00000000306C: D3F30038 1CE32532
	buffer_load_dword v12, s[16:19], 0 offen lds               // 000000003074: E0511000 8004000C
	s_add_u32 m0, s40, m0                                      // 00000000307C: 807C7C28
	v_fmac_f32_e32 v141, v61, v249                             // 000000003080: 771BF33D
	v_mfma_f32_16x16x32_fp8_fp8 v[56:59], a[52:53], a[148:149], v[56:59]// 000000003084: D3F30038 1CE32934
	v_fmac_f32_e32 v142, v62, v249                             // 00000000308C: 771DF33E
	v_mfma_f32_16x16x32_fp8_fp8 v[56:59], a[54:55], a[150:151], v[56:59]// 000000003090: D3F30038 1CE32D36
	v_fmac_f32_e32 v143, v63, v249                             // 000000003098: 771FF33F
	v_mfma_f32_16x16x32_fp8_fp8 v[60:63], a[56:57], a[144:145], 0// 00000000309C: D3F3003C 1A032138
	ds_read_b128 a[84:87], v9 offset:4608                      // 0000000030A4: DBFE1200 54000009
	v_fmac_f32_e32 v144, v56, v250                             // 0000000030AC: 7721F538
	v_mfma_f32_16x16x32_fp8_fp8 v[60:63], a[58:59], a[146:147], v[60:63]// 0000000030B0: D3F3003C 1CF3253A
	buffer_load_dword v13, s[16:19], 0 offen lds               // 0000000030B8: E0511000 8004000D
	s_add_u32 m0, s40, m0                                      // 0000000030C0: 807C7C28
	v_fmac_f32_e32 v145, v57, v250                             // 0000000030C4: 7723F539
	v_mfma_f32_16x16x32_fp8_fp8 v[60:63], a[60:61], a[148:149], v[60:63]// 0000000030C8: D3F3003C 1CF3293C
	v_fmac_f32_e32 v146, v58, v250                             // 0000000030D0: 7725F53A
	v_mfma_f32_16x16x32_fp8_fp8 v[60:63], a[62:63], a[150:151], v[60:63]// 0000000030D4: D3F3003C 1CF32D3E
	v_fmac_f32_e32 v147, v59, v250                             // 0000000030DC: 7727F53B
	v_mfma_f32_16x16x32_fp8_fp8 v[56:59], a[48:49], a[152:153], 0// 0000000030E0: D3F30038 1A033130
	ds_read_b128 a[88:91], v9 offset:6816                      // 0000000030E8: DBFE1AA0 58000009
	v_fmac_f32_e32 v148, v60, v250                             // 0000000030F0: 7729F53C
	v_mfma_f32_16x16x32_fp8_fp8 v[56:59], a[50:51], a[154:155], v[56:59]// 0000000030F4: D3F30038 1CE33532
	buffer_load_dword v14, s[16:19], 0 offen lds               // 0000000030FC: E0511000 8004000E
	s_add_u32 m0, s40, m0                                      // 000000003104: 807C7C28
	v_fmac_f32_e32 v149, v61, v250                             // 000000003108: 772BF53D
	v_mfma_f32_16x16x32_fp8_fp8 v[56:59], a[52:53], a[156:157], v[56:59]// 00000000310C: D3F30038 1CE33934
	v_fmac_f32_e32 v150, v62, v250                             // 000000003114: 772DF53E
	v_mfma_f32_16x16x32_fp8_fp8 v[56:59], a[54:55], a[158:159], v[56:59]// 000000003118: D3F30038 1CE33D36
	v_fmac_f32_e32 v151, v63, v250                             // 000000003120: 772FF53F
	v_mfma_f32_16x16x32_fp8_fp8 v[60:63], a[56:57], a[152:153], 0// 000000003124: D3F3003C 1A033138
	ds_read_b128 a[92:95], v9 offset:6880                      // 00000000312C: DBFE1AE0 5C000009
	v_fmac_f32_e32 v152, v56, v251                             // 000000003134: 7731F738
	v_mfma_f32_16x16x32_fp8_fp8 v[60:63], a[58:59], a[154:155], v[60:63]// 000000003138: D3F3003C 1CF3353A
	buffer_load_dword v15, s[16:19], 0 offen lds               // 000000003140: E0511000 8004000F
	s_add_u32 m0, s40, m0                                      // 000000003148: 807C7C28
	v_fmac_f32_e32 v153, v57, v251                             // 00000000314C: 7733F739
	v_mfma_f32_16x16x32_fp8_fp8 v[60:63], a[60:61], a[156:157], v[60:63]// 000000003150: D3F3003C 1CF3393C
	v_fmac_f32_e32 v154, v58, v251                             // 000000003158: 7735F73A
	v_mfma_f32_16x16x32_fp8_fp8 v[60:63], a[62:63], a[158:159], v[60:63]// 00000000315C: D3F3003C 1CF33D3E
	v_fmac_f32_e32 v155, v59, v251                             // 000000003164: 7737F73B
	v_mfma_f32_16x16x32_fp8_fp8 v[56:59], a[48:49], a[160:161], 0// 000000003168: D3F30038 1A034130
	ds_read_b128 a[96:99], v9 offset:9088                      // 000000003170: DBFE2380 60000009
	v_fmac_f32_e32 v156, v60, v251                             // 000000003178: 7739F73C
	v_mfma_f32_16x16x32_fp8_fp8 v[56:59], a[50:51], a[162:163], v[56:59]// 00000000317C: D3F30038 1CE34532
	buffer_load_dword v16, s[16:19], 0 offen lds               // 000000003184: E0511000 80040010
	s_add_u32 m0, s40, m0                                      // 00000000318C: 807C7C28
	v_fmac_f32_e32 v157, v61, v251                             // 000000003190: 773BF73D
	v_mfma_f32_16x16x32_fp8_fp8 v[56:59], a[52:53], a[164:165], v[56:59]// 000000003194: D3F30038 1CE34934
	v_fmac_f32_e32 v158, v62, v251                             // 00000000319C: 773DF73E
	v_mfma_f32_16x16x32_fp8_fp8 v[56:59], a[54:55], a[166:167], v[56:59]// 0000000031A0: D3F30038 1CE34D36
	v_fmac_f32_e32 v159, v63, v251                             // 0000000031A8: 773FF73F
	v_mfma_f32_16x16x32_fp8_fp8 v[60:63], a[56:57], a[160:161], 0// 0000000031AC: D3F3003C 1A034138
	ds_read_b128 a[100:103], v9 offset:9152                    // 0000000031B4: DBFE23C0 64000009
	v_fmac_f32_e32 v160, v56, v252                             // 0000000031BC: 7741F938
	v_mfma_f32_16x16x32_fp8_fp8 v[60:63], a[58:59], a[162:163], v[60:63]// 0000000031C0: D3F3003C 1CF3453A
	buffer_load_dword v17, s[16:19], 0 offen lds               // 0000000031C8: E0511000 80040011
	s_add_u32 m0, s40, m0                                      // 0000000031D0: 807C7C28
	v_fmac_f32_e32 v161, v57, v252                             // 0000000031D4: 7743F939
	v_mfma_f32_16x16x32_fp8_fp8 v[60:63], a[60:61], a[164:165], v[60:63]// 0000000031D8: D3F3003C 1CF3493C
	v_fmac_f32_e32 v162, v58, v252                             // 0000000031E0: 7745F93A
	v_mfma_f32_16x16x32_fp8_fp8 v[60:63], a[62:63], a[166:167], v[60:63]// 0000000031E4: D3F3003C 1CF34D3E
	v_fmac_f32_e32 v163, v59, v252                             // 0000000031EC: 7747F93B
	v_mfma_f32_16x16x32_fp8_fp8 v[56:59], a[48:49], a[168:169], 0// 0000000031F0: D3F30038 1A035130
	ds_read_b128 a[104:107], v9 offset:11360                   // 0000000031F8: DBFE2C60 68000009
	v_fmac_f32_e32 v164, v60, v252                             // 000000003200: 7749F93C
	v_mfma_f32_16x16x32_fp8_fp8 v[56:59], a[50:51], a[170:171], v[56:59]// 000000003204: D3F30038 1CE35532
	buffer_load_dword v18, s[16:19], 0 offen lds               // 00000000320C: E0511000 80040012
	s_add_u32 m0, s40, m0                                      // 000000003214: 807C7C28
	v_fmac_f32_e32 v165, v61, v252                             // 000000003218: 774BF93D
	v_mfma_f32_16x16x32_fp8_fp8 v[56:59], a[52:53], a[172:173], v[56:59]// 00000000321C: D3F30038 1CE35934
	v_fmac_f32_e32 v166, v62, v252                             // 000000003224: 774DF93E
	v_mfma_f32_16x16x32_fp8_fp8 v[56:59], a[54:55], a[174:175], v[56:59]// 000000003228: D3F30038 1CE35D36
	v_fmac_f32_e32 v167, v63, v252                             // 000000003230: 774FF93F
	v_mfma_f32_16x16x32_fp8_fp8 v[60:63], a[56:57], a[168:169], 0// 000000003234: D3F3003C 1A035138
	ds_read_b128 a[108:111], v9 offset:11424                   // 00000000323C: DBFE2CA0 6C000009
	v_fmac_f32_e32 v168, v56, v253                             // 000000003244: 7751FB38
	v_mfma_f32_16x16x32_fp8_fp8 v[60:63], a[58:59], a[170:171], v[60:63]// 000000003248: D3F3003C 1CF3553A
	buffer_load_dword v19, s[16:19], 0 offen lds               // 000000003250: E0511000 80040013
	s_add_u32 m0, s40, m0                                      // 000000003258: 807C7C28
	v_fmac_f32_e32 v169, v57, v253                             // 00000000325C: 7753FB39
	v_mfma_f32_16x16x32_fp8_fp8 v[60:63], a[60:61], a[172:173], v[60:63]// 000000003260: D3F3003C 1CF3593C
	v_fmac_f32_e32 v170, v58, v253                             // 000000003268: 7755FB3A
	v_mfma_f32_16x16x32_fp8_fp8 v[60:63], a[62:63], a[174:175], v[60:63]// 00000000326C: D3F3003C 1CF35D3E
	v_fmac_f32_e32 v171, v59, v253                             // 000000003274: 7757FB3B
	v_mfma_f32_16x16x32_fp8_fp8 v[56:59], a[48:49], a[176:177], 0// 000000003278: D3F30038 1A036130
	ds_read_b128 a[112:115], v9 offset:13632                   // 000000003280: DBFE3540 70000009
	v_fmac_f32_e32 v172, v60, v253                             // 000000003288: 7759FB3C
	v_mfma_f32_16x16x32_fp8_fp8 v[56:59], a[50:51], a[178:179], v[56:59]// 00000000328C: D3F30038 1CE36532
	buffer_load_dword v20, s[16:19], 0 offen lds               // 000000003294: E0511000 80040014
	s_add_u32 m0, s40, m0                                      // 00000000329C: 807C7C28
	v_fmac_f32_e32 v173, v61, v253                             // 0000000032A0: 775BFB3D
	v_mfma_f32_16x16x32_fp8_fp8 v[56:59], a[52:53], a[180:181], v[56:59]// 0000000032A4: D3F30038 1CE36934
	v_fmac_f32_e32 v174, v62, v253                             // 0000000032AC: 775DFB3E
	v_mfma_f32_16x16x32_fp8_fp8 v[56:59], a[54:55], a[182:183], v[56:59]// 0000000032B0: D3F30038 1CE36D36
	v_fmac_f32_e32 v175, v63, v253                             // 0000000032B8: 775FFB3F
	v_mfma_f32_16x16x32_fp8_fp8 v[60:63], a[56:57], a[176:177], 0// 0000000032BC: D3F3003C 1A036138
	ds_read_b128 a[116:119], v9 offset:13696                   // 0000000032C4: DBFE3580 74000009
	v_fmac_f32_e32 v176, v56, v254                             // 0000000032CC: 7761FD38
	v_mfma_f32_16x16x32_fp8_fp8 v[60:63], a[58:59], a[178:179], v[60:63]// 0000000032D0: D3F3003C 1CF3653A
	buffer_load_dword v21, s[16:19], 0 offen lds               // 0000000032D8: E0511000 80040015
	s_add_u32 m0, s40, m0                                      // 0000000032E0: 807C7C28
	v_fmac_f32_e32 v177, v57, v254                             // 0000000032E4: 7763FD39
	v_mfma_f32_16x16x32_fp8_fp8 v[60:63], a[60:61], a[180:181], v[60:63]// 0000000032E8: D3F3003C 1CF3693C
	v_fmac_f32_e32 v178, v58, v254                             // 0000000032F0: 7765FD3A
	v_mfma_f32_16x16x32_fp8_fp8 v[60:63], a[62:63], a[182:183], v[60:63]// 0000000032F4: D3F3003C 1CF36D3E
	v_fmac_f32_e32 v179, v59, v254                             // 0000000032FC: 7767FD3B
	v_mfma_f32_16x16x32_fp8_fp8 v[56:59], a[48:49], a[184:185], 0// 000000003300: D3F30038 1A037130
	ds_read_b128 a[120:123], v9 offset:15904                   // 000000003308: DBFE3E20 78000009
	v_fmac_f32_e32 v180, v60, v254                             // 000000003310: 7769FD3C
	v_mfma_f32_16x16x32_fp8_fp8 v[56:59], a[50:51], a[186:187], v[56:59]// 000000003314: D3F30038 1CE37532
	buffer_load_dword v22, s[16:19], 0 offen lds               // 00000000331C: E0511000 80040016
	s_add_u32 m0, s40, m0                                      // 000000003324: 807C7C28
	v_fmac_f32_e32 v181, v61, v254                             // 000000003328: 776BFD3D
	v_mfma_f32_16x16x32_fp8_fp8 v[56:59], a[52:53], a[188:189], v[56:59]// 00000000332C: D3F30038 1CE37934
	v_fmac_f32_e32 v182, v62, v254                             // 000000003334: 776DFD3E
	v_mfma_f32_16x16x32_fp8_fp8 v[56:59], a[54:55], a[190:191], v[56:59]// 000000003338: D3F30038 1CE37D36
	v_fmac_f32_e32 v183, v63, v254                             // 000000003340: 776FFD3F
	v_mfma_f32_16x16x32_fp8_fp8 v[60:63], a[56:57], a[184:185], 0// 000000003344: D3F3003C 1A037138
	ds_read_b128 a[124:127], v9 offset:15968                   // 00000000334C: DBFE3E60 7C000009
	v_fmac_f32_e32 v184, v56, v255                             // 000000003354: 7771FF38
	v_mfma_f32_16x16x32_fp8_fp8 v[60:63], a[58:59], a[186:187], v[60:63]// 000000003358: D3F3003C 1CF3753A
	buffer_load_dword v23, s[16:19], 0 offen lds               // 000000003360: E0511000 80040017
	v_fmac_f32_e32 v185, v57, v255                             // 000000003368: 7773FF39
	v_mfma_f32_16x16x32_fp8_fp8 v[60:63], a[60:61], a[188:189], v[60:63]// 00000000336C: D3F3003C 1CF3793C
	v_fmac_f32_e32 v186, v58, v255                             // 000000003374: 7775FF3A
	v_mfma_f32_16x16x32_fp8_fp8 v[60:63], a[62:63], a[190:191], v[60:63]// 000000003378: D3F3003C 1CF37D3E
	v_fmac_f32_e32 v187, v59, v255                             // 000000003380: 7777FF3B
	s_cmp_gt_i32 s38, 3                                        // 000000003384: BF028326
	s_cselect_b32 s86, s41, 0                                  // 000000003388: 85568029
	v_fmac_f32_e32 v188, v60, v255                             // 00000000338C: 7779FF3C
	v_fmac_f32_e32 v189, v61, v255                             // 000000003390: 777BFF3D
	v_fmac_f32_e32 v190, v62, v255                             // 000000003394: 777DFF3E
	v_fmac_f32_e32 v191, v63, v255                             // 000000003398: 777FFF3F
	s_add_u32 s16, s86, s16                                    // 00000000339C: 80101056
	s_addc_u32 s17, 0, s17                                     // 0000000033A0: 82111180
	s_cmp_gt_i32 s38, 2                                        // 0000000033A4: BF028226
	s_cselect_b32 s86, s44, 0                                  // 0000000033A8: 8556802C
	s_add_u32 s20, s86, s20                                    // 0000000033AC: 80141456
	s_addc_u32 s21, 0, s21                                     // 0000000033B0: 82151580
	s_cmp_gt_i32 s38, 2                                        // 0000000033B4: BF028226
	s_cselect_b32 s86, s4, 0                                   // 0000000033B8: 85568004
	s_add_u32 s24, s86, s24                                    // 0000000033BC: 80181856
	s_addc_u32 s25, 0, s25                                     // 0000000033C0: 82191980
	s_cmp_gt_i32 s38, 2                                        // 0000000033C4: BF028226
	s_cselect_b32 s86, s43, 0                                  // 0000000033C8: 8556802B
	s_add_u32 s28, s86, s28                                    // 0000000033CC: 801C1C56
	s_addc_u32 s29, 0, s29                                     // 0000000033D0: 821D1D80
	s_sub_i32 s38, s38, 1                                      // 0000000033D4: 81A68126
	s_cmp_gt_i32 s38, 0                                        // 0000000033D8: BF028026
	s_cbranch_scc0 L_end0                                      // 0000000033DC: BF840001
	s_branch L_start0                                          // 0000000033E0: BF82FBC8

00000000000033e4 <L_end0>:
	s_nop 2                                                    // 0000000033E4: BF800002
	v_or_b32_e32 v2, s7, v1                                    // 0000000033E8: 28040207
	v_cmp_gt_i32_e32 vcc, s6, v2                               // 0000000033EC: 7D880406
	s_and_saveexec_b64 s[8:9], vcc                             // 0000000033F0: BE88206A
	s_cbranch_execz 392                                        // 0000000033F4: BF880188 <L_end0+0x634>
	s_load_dwordx2 s[0:1], s[0:1], 0x30                        // 0000000033F8: C0060000 00000030
	s_lshl_b32 s2, s2, 8                                       // 000000003400: 8E028802
	v_lshrrev_b32_e32 v0, 2, v0                                // 000000003404: 20000082
	v_and_or_b32 v0, v0, 60, s2                                // 000000003408: D2010000 00097900
	v_mad_u64_u32 v[0:1], s[2:3], s5, v2, v[0:1]               // 000000003410: D1E80200 04020405
	v_cvt_f16_f32_e32 v3, v64                                  // 000000003418: 7E061540
	v_ashrrev_i32_e32 v1, 31, v0                               // 00000000341C: 2202009F
	v_cvt_f16_f32_e32 v6, v65                                  // 000000003420: 7E0C1541
	s_waitcnt lgkmcnt(0)                                       // 000000003424: BF8CC07F
	v_lshl_add_u64 v[4:5], v[0:1], 1, s[0:1]                   // 000000003428: D2080004 00010300
	v_cvt_f16_f32_e32 v1, v66                                  // 000000003430: 7E021542
	v_cvt_f16_f32_e32 v7, v67                                  // 000000003434: 7E0E1543
	v_pack_b32_f16 v6, v3, v6                                  // 000000003438: D2A00006 00020D03
	v_cvt_f16_f32_e32 v3, v68                                  // 000000003440: 7E061544
	v_cvt_f16_f32_e32 v8, v69                                  // 000000003444: 7E101545
	v_cvt_f16_f32_e32 v9, v70                                  // 000000003448: 7E121546
	v_cvt_f16_f32_e32 v10, v71                                 // 00000000344C: 7E141547
	v_pack_b32_f16 v7, v1, v7                                  // 000000003450: D2A00007 00020F01
	global_store_dwordx2 v[4:5], v[6:7], off                   // 000000003458: DC748000 007F0604
	v_pack_b32_f16 v6, v3, v8                                  // 000000003460: D2A00006 00021103
	v_pack_b32_f16 v7, v9, v10                                 // 000000003468: D2A00007 00021509
	v_cvt_f16_f32_e32 v1, v128                                 // 000000003470: 7E021580
	v_cvt_f16_f32_e32 v3, v129                                 // 000000003474: 7E061581
	global_store_dwordx2 v[4:5], v[6:7], off offset:128        // 000000003478: DC748080 007F0604
	v_cvt_f16_f32_e32 v7, v130                                 // 000000003480: 7E0E1582
	v_cvt_f16_f32_e32 v8, v131                                 // 000000003484: 7E101583
	v_pack_b32_f16 v6, v1, v3                                  // 000000003488: D2A00006 00020701
	v_cvt_f16_f32_e32 v1, v132                                 // 000000003490: 7E021584
	v_cvt_f16_f32_e32 v3, v133                                 // 000000003494: 7E061585
	v_cvt_f16_f32_e32 v9, v134                                 // 000000003498: 7E121586
	v_cvt_f16_f32_e32 v10, v135                                // 00000000349C: 7E141587
	v_pack_b32_f16 v7, v7, v8                                  // 0000000034A0: D2A00007 00021107
	global_store_dwordx2 v[4:5], v[6:7], off offset:256        // 0000000034A8: DC748100 007F0604
	v_pack_b32_f16 v6, v1, v3                                  // 0000000034B0: D2A00006 00020701
	v_pack_b32_f16 v7, v9, v10                                 // 0000000034B8: D2A00007 00021509
	global_store_dwordx2 v[4:5], v[6:7], off offset:384        // 0000000034C0: DC748180 007F0604
	v_or_b32_e32 v1, 16, v2                                    // 0000000034C8: 28020490
	v_cmp_gt_i32_e32 vcc, s6, v1                               // 0000000034CC: 7D880206
	s_and_b64 exec, exec, vcc                                  // 0000000034D0: 86FE6A7E
	s_cbranch_execz 336                                        // 0000000034D4: BF880150 <L_end0+0x634>
	s_lshl_b32 s2, s5, 4                                       // 0000000034D8: 8E028405
	v_add_u32_e32 v0, s2, v0                                   // 0000000034DC: 68000002
	v_cvt_f16_f32_e32 v3, v72                                  // 0000000034E0: 7E061548
	v_ashrrev_i32_e32 v1, 31, v0                               // 0000000034E4: 2202009F
	v_cvt_f16_f32_e32 v6, v73                                  // 0000000034E8: 7E0C1549
	v_lshl_add_u64 v[4:5], v[0:1], 1, s[0:1]                   // 0000000034EC: D2080004 00010300
	v_cvt_f16_f32_e32 v1, v74                                  // 0000000034F4: 7E02154A
	v_cvt_f16_f32_e32 v7, v75                                  // 0000000034F8: 7E0E154B
	v_pack_b32_f16 v6, v3, v6                                  // 0000000034FC: D2A00006 00020D03
	v_cvt_f16_f32_e32 v3, v76                                  // 000000003504: 7E06154C
	v_cvt_f16_f32_e32 v8, v77                                  // 000000003508: 7E10154D
	v_cvt_f16_f32_e32 v9, v78                                  // 00000000350C: 7E12154E
	v_cvt_f16_f32_e32 v10, v79                                 // 000000003510: 7E14154F
	v_pack_b32_f16 v7, v1, v7                                  // 000000003514: D2A00007 00020F01
	global_store_dwordx2 v[4:5], v[6:7], off                   // 00000000351C: DC748000 007F0604
	v_pack_b32_f16 v6, v3, v8                                  // 000000003524: D2A00006 00021103
	v_pack_b32_f16 v7, v9, v10                                 // 00000000352C: D2A00007 00021509
	v_cvt_f16_f32_e32 v1, v136                                 // 000000003534: 7E021588
	v_cvt_f16_f32_e32 v3, v137                                 // 000000003538: 7E061589
	global_store_dwordx2 v[4:5], v[6:7], off offset:128        // 00000000353C: DC748080 007F0604
	v_cvt_f16_f32_e32 v7, v138                                 // 000000003544: 7E0E158A
	v_cvt_f16_f32_e32 v8, v139                                 // 000000003548: 7E10158B
	v_pack_b32_f16 v6, v1, v3                                  // 00000000354C: D2A00006 00020701
	v_cvt_f16_f32_e32 v1, v140                                 // 000000003554: 7E02158C
	v_cvt_f16_f32_e32 v3, v141                                 // 000000003558: 7E06158D
	v_cvt_f16_f32_e32 v9, v142                                 // 00000000355C: 7E12158E
	v_cvt_f16_f32_e32 v10, v143                                // 000000003560: 7E14158F
	v_pack_b32_f16 v7, v7, v8                                  // 000000003564: D2A00007 00021107
	global_store_dwordx2 v[4:5], v[6:7], off offset:256        // 00000000356C: DC748100 007F0604
	v_pack_b32_f16 v6, v1, v3                                  // 000000003574: D2A00006 00020701
	v_pack_b32_f16 v7, v9, v10                                 // 00000000357C: D2A00007 00021509
	global_store_dwordx2 v[4:5], v[6:7], off offset:384        // 000000003584: DC748180 007F0604
	v_or_b32_e32 v1, 32, v2                                    // 00000000358C: 280204A0
	v_cmp_gt_i32_e32 vcc, s6, v1                               // 000000003590: 7D880206
	s_and_b64 exec, exec, vcc                                  // 000000003594: 86FE6A7E
	s_cbranch_execz 287                                        // 000000003598: BF88011F <L_end0+0x634>
	v_add_u32_e32 v0, s2, v0                                   // 00000000359C: 68000002
	v_cvt_f16_f32_e32 v3, v80                                  // 0000000035A0: 7E061550
	v_ashrrev_i32_e32 v1, 31, v0                               // 0000000035A4: 2202009F
	v_cvt_f16_f32_e32 v6, v81                                  // 0000000035A8: 7E0C1551
	v_lshl_add_u64 v[4:5], v[0:1], 1, s[0:1]                   // 0000000035AC: D2080004 00010300
	v_cvt_f16_f32_e32 v1, v82                                  // 0000000035B4: 7E021552
	v_cvt_f16_f32_e32 v7, v83                                  // 0000000035B8: 7E0E1553
	v_pack_b32_f16 v6, v3, v6                                  // 0000000035BC: D2A00006 00020D03
	v_cvt_f16_f32_e32 v3, v84                                  // 0000000035C4: 7E061554
	v_cvt_f16_f32_e32 v8, v85                                  // 0000000035C8: 7E101555
	v_cvt_f16_f32_e32 v9, v86                                  // 0000000035CC: 7E121556
	v_cvt_f16_f32_e32 v10, v87                                 // 0000000035D0: 7E141557
	v_pack_b32_f16 v7, v1, v7                                  // 0000000035D4: D2A00007 00020F01
	global_store_dwordx2 v[4:5], v[6:7], off                   // 0000000035DC: DC748000 007F0604
	v_pack_b32_f16 v6, v3, v8                                  // 0000000035E4: D2A00006 00021103
	v_pack_b32_f16 v7, v9, v10                                 // 0000000035EC: D2A00007 00021509
	v_cvt_f16_f32_e32 v1, v144                                 // 0000000035F4: 7E021590
	v_cvt_f16_f32_e32 v3, v145                                 // 0000000035F8: 7E061591
	global_store_dwordx2 v[4:5], v[6:7], off offset:128        // 0000000035FC: DC748080 007F0604
	v_cvt_f16_f32_e32 v7, v146                                 // 000000003604: 7E0E1592
	v_cvt_f16_f32_e32 v8, v147                                 // 000000003608: 7E101593
	v_pack_b32_f16 v6, v1, v3                                  // 00000000360C: D2A00006 00020701
	v_cvt_f16_f32_e32 v1, v148                                 // 000000003614: 7E021594
	v_cvt_f16_f32_e32 v3, v149                                 // 000000003618: 7E061595
	v_cvt_f16_f32_e32 v9, v150                                 // 00000000361C: 7E121596
	v_cvt_f16_f32_e32 v10, v151                                // 000000003620: 7E141597
	v_pack_b32_f16 v7, v7, v8                                  // 000000003624: D2A00007 00021107
	global_store_dwordx2 v[4:5], v[6:7], off offset:256        // 00000000362C: DC748100 007F0604
	v_pack_b32_f16 v6, v1, v3                                  // 000000003634: D2A00006 00020701
	v_pack_b32_f16 v7, v9, v10                                 // 00000000363C: D2A00007 00021509
	global_store_dwordx2 v[4:5], v[6:7], off offset:384        // 000000003644: DC748180 007F0604
	v_or_b32_e32 v1, 48, v2                                    // 00000000364C: 280204B0
	v_cmp_gt_i32_e32 vcc, s6, v1                               // 000000003650: 7D880206
	s_and_b64 exec, exec, vcc                                  // 000000003654: 86FE6A7E
	s_cbranch_execz 239                                        // 000000003658: BF8800EF <L_end0+0x634>
	v_add_u32_e32 v0, s2, v0                                   // 00000000365C: 68000002
	v_cvt_f16_f32_e32 v3, v88                                  // 000000003660: 7E061558
	v_ashrrev_i32_e32 v1, 31, v0                               // 000000003664: 2202009F
	v_cvt_f16_f32_e32 v6, v89                                  // 000000003668: 7E0C1559
	v_lshl_add_u64 v[4:5], v[0:1], 1, s[0:1]                   // 00000000366C: D2080004 00010300
	v_cvt_f16_f32_e32 v1, v90                                  // 000000003674: 7E02155A
	v_cvt_f16_f32_e32 v7, v91                                  // 000000003678: 7E0E155B
	v_pack_b32_f16 v6, v3, v6                                  // 00000000367C: D2A00006 00020D03
	v_cvt_f16_f32_e32 v3, v92                                  // 000000003684: 7E06155C
	v_cvt_f16_f32_e32 v8, v93                                  // 000000003688: 7E10155D
	v_cvt_f16_f32_e32 v9, v94                                  // 00000000368C: 7E12155E
	v_cvt_f16_f32_e32 v10, v95                                 // 000000003690: 7E14155F
	v_pack_b32_f16 v7, v1, v7                                  // 000000003694: D2A00007 00020F01
	global_store_dwordx2 v[4:5], v[6:7], off                   // 00000000369C: DC748000 007F0604
	v_pack_b32_f16 v6, v3, v8                                  // 0000000036A4: D2A00006 00021103
	v_pack_b32_f16 v7, v9, v10                                 // 0000000036AC: D2A00007 00021509
	v_cvt_f16_f32_e32 v1, v152                                 // 0000000036B4: 7E021598
	v_cvt_f16_f32_e32 v3, v153                                 // 0000000036B8: 7E061599
	global_store_dwordx2 v[4:5], v[6:7], off offset:128        // 0000000036BC: DC748080 007F0604
	v_cvt_f16_f32_e32 v7, v154                                 // 0000000036C4: 7E0E159A
	v_cvt_f16_f32_e32 v8, v155                                 // 0000000036C8: 7E10159B
	v_pack_b32_f16 v6, v1, v3                                  // 0000000036CC: D2A00006 00020701
	v_cvt_f16_f32_e32 v1, v156                                 // 0000000036D4: 7E02159C
	v_cvt_f16_f32_e32 v3, v157                                 // 0000000036D8: 7E06159D
	v_cvt_f16_f32_e32 v9, v158                                 // 0000000036DC: 7E12159E
	v_cvt_f16_f32_e32 v10, v159                                // 0000000036E0: 7E14159F
	v_pack_b32_f16 v7, v7, v8                                  // 0000000036E4: D2A00007 00021107
	global_store_dwordx2 v[4:5], v[6:7], off offset:256        // 0000000036EC: DC748100 007F0604
	v_pack_b32_f16 v6, v1, v3                                  // 0000000036F4: D2A00006 00020701
	v_pack_b32_f16 v7, v9, v10                                 // 0000000036FC: D2A00007 00021509
	global_store_dwordx2 v[4:5], v[6:7], off offset:384        // 000000003704: DC748180 007F0604
	v_or_b32_e32 v1, 64, v2                                    // 00000000370C: 280204C0
	v_cmp_gt_i32_e32 vcc, s6, v1                               // 000000003710: 7D880206
	s_and_b64 exec, exec, vcc                                  // 000000003714: 86FE6A7E
	s_cbranch_execz 191                                        // 000000003718: BF8800BF <L_end0+0x634>
	v_add_u32_e32 v0, s2, v0                                   // 00000000371C: 68000002
	v_cvt_f16_f32_e32 v3, v96                                  // 000000003720: 7E061560
	v_ashrrev_i32_e32 v1, 31, v0                               // 000000003724: 2202009F
	v_cvt_f16_f32_e32 v6, v97                                  // 000000003728: 7E0C1561
	v_lshl_add_u64 v[4:5], v[0:1], 1, s[0:1]                   // 00000000372C: D2080004 00010300
	v_cvt_f16_f32_e32 v1, v98                                  // 000000003734: 7E021562
	v_cvt_f16_f32_e32 v7, v99                                  // 000000003738: 7E0E1563
	v_pack_b32_f16 v6, v3, v6                                  // 00000000373C: D2A00006 00020D03
	v_cvt_f16_f32_e32 v3, v100                                 // 000000003744: 7E061564
	v_cvt_f16_f32_e32 v8, v101                                 // 000000003748: 7E101565
	v_cvt_f16_f32_e32 v9, v102                                 // 00000000374C: 7E121566
	v_cvt_f16_f32_e32 v10, v103                                // 000000003750: 7E141567
	v_pack_b32_f16 v7, v1, v7                                  // 000000003754: D2A00007 00020F01
	global_store_dwordx2 v[4:5], v[6:7], off                   // 00000000375C: DC748000 007F0604
	v_pack_b32_f16 v6, v3, v8                                  // 000000003764: D2A00006 00021103
	v_pack_b32_f16 v7, v9, v10                                 // 00000000376C: D2A00007 00021509
	v_cvt_f16_f32_e32 v1, v160                                 // 000000003774: 7E0215A0
	v_cvt_f16_f32_e32 v3, v161                                 // 000000003778: 7E0615A1
	global_store_dwordx2 v[4:5], v[6:7], off offset:128        // 00000000377C: DC748080 007F0604
	v_cvt_f16_f32_e32 v7, v162                                 // 000000003784: 7E0E15A2
	v_cvt_f16_f32_e32 v8, v163                                 // 000000003788: 7E1015A3
	v_pack_b32_f16 v6, v1, v3                                  // 00000000378C: D2A00006 00020701
	v_cvt_f16_f32_e32 v1, v164                                 // 000000003794: 7E0215A4
	v_cvt_f16_f32_e32 v3, v165                                 // 000000003798: 7E0615A5
	v_cvt_f16_f32_e32 v9, v166                                 // 00000000379C: 7E1215A6
	v_cvt_f16_f32_e32 v10, v167                                // 0000000037A0: 7E1415A7
	v_pack_b32_f16 v7, v7, v8                                  // 0000000037A4: D2A00007 00021107
	global_store_dwordx2 v[4:5], v[6:7], off offset:256        // 0000000037AC: DC748100 007F0604
	v_pack_b32_f16 v6, v1, v3                                  // 0000000037B4: D2A00006 00020701
	v_pack_b32_f16 v7, v9, v10                                 // 0000000037BC: D2A00007 00021509
	global_store_dwordx2 v[4:5], v[6:7], off offset:384        // 0000000037C4: DC748180 007F0604
	v_or_b32_e32 v1, 0x50, v2                                  // 0000000037CC: 280204FF 00000050
	v_cmp_gt_i32_e32 vcc, s6, v1                               // 0000000037D4: 7D880206
	s_and_b64 exec, exec, vcc                                  // 0000000037D8: 86FE6A7E
	s_cbranch_execz 142                                        // 0000000037DC: BF88008E <L_end0+0x634>
	v_add_u32_e32 v0, s2, v0                                   // 0000000037E0: 68000002
	v_cvt_f16_f32_e32 v3, v104                                 // 0000000037E4: 7E061568
	v_ashrrev_i32_e32 v1, 31, v0                               // 0000000037E8: 2202009F
	v_cvt_f16_f32_e32 v6, v105                                 // 0000000037EC: 7E0C1569
	v_lshl_add_u64 v[4:5], v[0:1], 1, s[0:1]                   // 0000000037F0: D2080004 00010300
	v_cvt_f16_f32_e32 v1, v106                                 // 0000000037F8: 7E02156A
	v_cvt_f16_f32_e32 v7, v107                                 // 0000000037FC: 7E0E156B
	v_pack_b32_f16 v6, v3, v6                                  // 000000003800: D2A00006 00020D03
	v_cvt_f16_f32_e32 v3, v108                                 // 000000003808: 7E06156C
	v_cvt_f16_f32_e32 v8, v109                                 // 00000000380C: 7E10156D
	v_cvt_f16_f32_e32 v9, v110                                 // 000000003810: 7E12156E
	v_cvt_f16_f32_e32 v10, v111                                // 000000003814: 7E14156F
	v_pack_b32_f16 v7, v1, v7                                  // 000000003818: D2A00007 00020F01
	global_store_dwordx2 v[4:5], v[6:7], off                   // 000000003820: DC748000 007F0604
	v_pack_b32_f16 v6, v3, v8                                  // 000000003828: D2A00006 00021103
	v_pack_b32_f16 v7, v9, v10                                 // 000000003830: D2A00007 00021509
	v_cvt_f16_f32_e32 v1, v168                                 // 000000003838: 7E0215A8
	v_cvt_f16_f32_e32 v3, v169                                 // 00000000383C: 7E0615A9
	global_store_dwordx2 v[4:5], v[6:7], off offset:128        // 000000003840: DC748080 007F0604
	v_cvt_f16_f32_e32 v7, v170                                 // 000000003848: 7E0E15AA
	v_cvt_f16_f32_e32 v8, v171                                 // 00000000384C: 7E1015AB
	v_pack_b32_f16 v6, v1, v3                                  // 000000003850: D2A00006 00020701
	v_cvt_f16_f32_e32 v1, v172                                 // 000000003858: 7E0215AC
	v_cvt_f16_f32_e32 v3, v173                                 // 00000000385C: 7E0615AD
	v_cvt_f16_f32_e32 v9, v174                                 // 000000003860: 7E1215AE
	v_cvt_f16_f32_e32 v10, v175                                // 000000003864: 7E1415AF
	v_pack_b32_f16 v7, v7, v8                                  // 000000003868: D2A00007 00021107
	global_store_dwordx2 v[4:5], v[6:7], off offset:256        // 000000003870: DC748100 007F0604
	v_pack_b32_f16 v6, v1, v3                                  // 000000003878: D2A00006 00020701
	v_pack_b32_f16 v7, v9, v10                                 // 000000003880: D2A00007 00021509
	global_store_dwordx2 v[4:5], v[6:7], off offset:384        // 000000003888: DC748180 007F0604
	v_or_b32_e32 v1, 0x60, v2                                  // 000000003890: 280204FF 00000060
	v_cmp_gt_i32_e32 vcc, s6, v1                               // 000000003898: 7D880206
	s_and_b64 exec, exec, vcc                                  // 00000000389C: 86FE6A7E
	s_cbranch_execz 93                                         // 0000000038A0: BF88005D <L_end0+0x634>
	v_add_u32_e32 v0, s2, v0                                   // 0000000038A4: 68000002
	v_cvt_f16_f32_e32 v3, v112                                 // 0000000038A8: 7E061570
	v_ashrrev_i32_e32 v1, 31, v0                               // 0000000038AC: 2202009F
	v_cvt_f16_f32_e32 v6, v113                                 // 0000000038B0: 7E0C1571
	v_lshl_add_u64 v[4:5], v[0:1], 1, s[0:1]                   // 0000000038B4: D2080004 00010300
	v_cvt_f16_f32_e32 v1, v114                                 // 0000000038BC: 7E021572
	v_cvt_f16_f32_e32 v7, v115                                 // 0000000038C0: 7E0E1573
	v_pack_b32_f16 v6, v3, v6                                  // 0000000038C4: D2A00006 00020D03
	v_cvt_f16_f32_e32 v3, v116                                 // 0000000038CC: 7E061574
	v_cvt_f16_f32_e32 v8, v117                                 // 0000000038D0: 7E101575
	v_cvt_f16_f32_e32 v9, v118                                 // 0000000038D4: 7E121576
	v_cvt_f16_f32_e32 v10, v119                                // 0000000038D8: 7E141577
	v_pack_b32_f16 v7, v1, v7                                  // 0000000038DC: D2A00007 00020F01
	global_store_dwordx2 v[4:5], v[6:7], off                   // 0000000038E4: DC748000 007F0604
	v_pack_b32_f16 v6, v3, v8                                  // 0000000038EC: D2A00006 00021103
	v_pack_b32_f16 v7, v9, v10                                 // 0000000038F4: D2A00007 00021509
	v_cvt_f16_f32_e32 v1, v176                                 // 0000000038FC: 7E0215B0
	v_cvt_f16_f32_e32 v3, v177                                 // 000000003900: 7E0615B1
	global_store_dwordx2 v[4:5], v[6:7], off offset:128        // 000000003904: DC748080 007F0604
	v_cvt_f16_f32_e32 v7, v178                                 // 00000000390C: 7E0E15B2
	v_cvt_f16_f32_e32 v8, v179                                 // 000000003910: 7E1015B3
	v_pack_b32_f16 v6, v1, v3                                  // 000000003914: D2A00006 00020701
	v_cvt_f16_f32_e32 v1, v180                                 // 00000000391C: 7E0215B4
	v_cvt_f16_f32_e32 v3, v181                                 // 000000003920: 7E0615B5
	v_cvt_f16_f32_e32 v9, v182                                 // 000000003924: 7E1215B6
	v_cvt_f16_f32_e32 v10, v183                                // 000000003928: 7E1415B7
	v_pack_b32_f16 v7, v7, v8                                  // 00000000392C: D2A00007 00021107
	global_store_dwordx2 v[4:5], v[6:7], off offset:256        // 000000003934: DC748100 007F0604
	v_pack_b32_f16 v6, v1, v3                                  // 00000000393C: D2A00006 00020701
	v_pack_b32_f16 v7, v9, v10                                 // 000000003944: D2A00007 00021509
	global_store_dwordx2 v[4:5], v[6:7], off offset:384        // 00000000394C: DC748180 007F0604
	v_or_b32_e32 v1, 0x70, v2                                  // 000000003954: 280204FF 00000070
	v_cmp_gt_i32_e32 vcc, s6, v1                               // 00000000395C: 7D880206
	s_and_b64 exec, exec, vcc                                  // 000000003960: 86FE6A7E
	s_cbranch_execz 44                                         // 000000003964: BF88002C <L_end0+0x634>
	v_add_u32_e32 v0, s2, v0                                   // 000000003968: 68000002
	v_cvt_f16_f32_e32 v2, v120                                 // 00000000396C: 7E041578
	v_ashrrev_i32_e32 v1, 31, v0                               // 000000003970: 2202009F
	v_cvt_f16_f32_e32 v3, v121                                 // 000000003974: 7E061579
	v_lshl_add_u64 v[0:1], v[0:1], 1, s[0:1]                   // 000000003978: D2080000 00010300
	v_cvt_f16_f32_e32 v4, v122                                 // 000000003980: 7E08157A
	v_cvt_f16_f32_e32 v5, v123                                 // 000000003984: 7E0A157B
	v_pack_b32_f16 v2, v2, v3                                  // 000000003988: D2A00002 00020702
	v_cvt_f16_f32_e32 v6, v124                                 // 000000003990: 7E0C157C
	v_cvt_f16_f32_e32 v7, v125                                 // 000000003994: 7E0E157D
	v_cvt_f16_f32_e32 v8, v126                                 // 000000003998: 7E10157E
	v_cvt_f16_f32_e32 v9, v127                                 // 00000000399C: 7E12157F
	v_pack_b32_f16 v3, v4, v5                                  // 0000000039A0: D2A00003 00020B04
	global_store_dwordx2 v[0:1], v[2:3], off                   // 0000000039A8: DC748000 007F0200
	v_pack_b32_f16 v2, v6, v7                                  // 0000000039B0: D2A00002 00020F06
	v_pack_b32_f16 v3, v8, v9                                  // 0000000039B8: D2A00003 00021308
	v_cvt_f16_f32_e32 v4, v184                                 // 0000000039C0: 7E0815B8
	v_cvt_f16_f32_e32 v5, v185                                 // 0000000039C4: 7E0A15B9
	global_store_dwordx2 v[0:1], v[2:3], off offset:128        // 0000000039C8: DC748080 007F0200
	v_cvt_f16_f32_e32 v3, v186                                 // 0000000039D0: 7E0615BA
	v_cvt_f16_f32_e32 v6, v187                                 // 0000000039D4: 7E0C15BB
	v_pack_b32_f16 v2, v4, v5                                  // 0000000039D8: D2A00002 00020B04
	v_cvt_f16_f32_e32 v4, v188                                 // 0000000039E0: 7E0815BC
	v_cvt_f16_f32_e32 v5, v189                                 // 0000000039E4: 7E0A15BD
	v_cvt_f16_f32_e32 v7, v190                                 // 0000000039E8: 7E0E15BE
	v_cvt_f16_f32_e32 v8, v191                                 // 0000000039EC: 7E1015BF
	v_pack_b32_f16 v3, v3, v6                                  // 0000000039F0: D2A00003 00020D03
	global_store_dwordx2 v[0:1], v[2:3], off offset:256        // 0000000039F8: DC748100 007F0200
	v_pack_b32_f16 v2, v4, v5                                  // 000000003A00: D2A00002 00020B04
	v_pack_b32_f16 v3, v7, v8                                  // 000000003A08: D2A00003 00021107
	global_store_dwordx2 v[0:1], v[2:3], off offset:384        // 000000003A10: DC748180 007F0200
	s_endpgm                                                   // 000000003A18: BF810000
